;; amdgpu-corpus repo=ROCm/rocFFT kind=compiled arch=gfx906 opt=O3
	.text
	.amdgcn_target "amdgcn-amd-amdhsa--gfx906"
	.amdhsa_code_object_version 6
	.protected	fft_rtc_fwd_len1375_factors_11_5_5_5_wgs_55_tpt_55_halfLds_half_op_CI_CI_unitstride_sbrr_dirReg ; -- Begin function fft_rtc_fwd_len1375_factors_11_5_5_5_wgs_55_tpt_55_halfLds_half_op_CI_CI_unitstride_sbrr_dirReg
	.globl	fft_rtc_fwd_len1375_factors_11_5_5_5_wgs_55_tpt_55_halfLds_half_op_CI_CI_unitstride_sbrr_dirReg
	.p2align	8
	.type	fft_rtc_fwd_len1375_factors_11_5_5_5_wgs_55_tpt_55_halfLds_half_op_CI_CI_unitstride_sbrr_dirReg,@function
fft_rtc_fwd_len1375_factors_11_5_5_5_wgs_55_tpt_55_halfLds_half_op_CI_CI_unitstride_sbrr_dirReg: ; @fft_rtc_fwd_len1375_factors_11_5_5_5_wgs_55_tpt_55_halfLds_half_op_CI_CI_unitstride_sbrr_dirReg
; %bb.0:
	s_load_dwordx4 s[8:11], s[4:5], 0x58
	s_load_dwordx4 s[12:15], s[4:5], 0x0
	;; [unrolled: 1-line block ×3, first 2 shown]
	v_mul_u32_u24_e32 v1, 0x4a8, v0
	v_mov_b32_e32 v5, 0
	v_mov_b32_e32 v7, 0
	s_waitcnt lgkmcnt(0)
	v_cmp_lt_u64_e64 s[0:1], s[14:15], 2
	v_add_u32_sdwa v9, s6, v1 dst_sel:DWORD dst_unused:UNUSED_PAD src0_sel:DWORD src1_sel:WORD_1
	v_mov_b32_e32 v10, v5
	s_and_b64 vcc, exec, s[0:1]
	v_mov_b32_e32 v8, 0
	s_cbranch_vccnz .LBB0_8
; %bb.1:
	s_load_dwordx2 s[0:1], s[4:5], 0x10
	s_add_u32 s2, s18, 8
	s_addc_u32 s3, s19, 0
	s_add_u32 s6, s16, 8
	s_addc_u32 s7, s17, 0
	v_mov_b32_e32 v7, 0
	s_waitcnt lgkmcnt(0)
	s_add_u32 s20, s0, 8
	v_mov_b32_e32 v8, 0
	v_mov_b32_e32 v1, v7
	s_addc_u32 s21, s1, 0
	s_mov_b64 s[22:23], 1
	v_mov_b32_e32 v2, v8
.LBB0_2:                                ; =>This Inner Loop Header: Depth=1
	s_load_dwordx2 s[24:25], s[20:21], 0x0
                                        ; implicit-def: $vgpr3_vgpr4
	s_waitcnt lgkmcnt(0)
	v_or_b32_e32 v6, s25, v10
	v_cmp_ne_u64_e32 vcc, 0, v[5:6]
	s_and_saveexec_b64 s[0:1], vcc
	s_xor_b64 s[26:27], exec, s[0:1]
	s_cbranch_execz .LBB0_4
; %bb.3:                                ;   in Loop: Header=BB0_2 Depth=1
	v_cvt_f32_u32_e32 v3, s24
	v_cvt_f32_u32_e32 v4, s25
	s_sub_u32 s0, 0, s24
	s_subb_u32 s1, 0, s25
	v_mac_f32_e32 v3, 0x4f800000, v4
	v_rcp_f32_e32 v3, v3
	v_mul_f32_e32 v3, 0x5f7ffffc, v3
	v_mul_f32_e32 v4, 0x2f800000, v3
	v_trunc_f32_e32 v4, v4
	v_mac_f32_e32 v3, 0xcf800000, v4
	v_cvt_u32_f32_e32 v4, v4
	v_cvt_u32_f32_e32 v3, v3
	v_mul_lo_u32 v6, s0, v4
	v_mul_hi_u32 v11, s0, v3
	v_mul_lo_u32 v13, s1, v3
	v_mul_lo_u32 v12, s0, v3
	v_add_u32_e32 v6, v11, v6
	v_add_u32_e32 v6, v6, v13
	v_mul_hi_u32 v11, v3, v12
	v_mul_lo_u32 v13, v3, v6
	v_mul_hi_u32 v15, v3, v6
	v_mul_hi_u32 v14, v4, v12
	v_mul_lo_u32 v12, v4, v12
	v_mul_hi_u32 v16, v4, v6
	v_add_co_u32_e32 v11, vcc, v11, v13
	v_addc_co_u32_e32 v13, vcc, 0, v15, vcc
	v_mul_lo_u32 v6, v4, v6
	v_add_co_u32_e32 v11, vcc, v11, v12
	v_addc_co_u32_e32 v11, vcc, v13, v14, vcc
	v_addc_co_u32_e32 v12, vcc, 0, v16, vcc
	v_add_co_u32_e32 v6, vcc, v11, v6
	v_addc_co_u32_e32 v11, vcc, 0, v12, vcc
	v_add_co_u32_e32 v3, vcc, v3, v6
	v_addc_co_u32_e32 v4, vcc, v4, v11, vcc
	v_mul_lo_u32 v6, s0, v4
	v_mul_hi_u32 v11, s0, v3
	v_mul_lo_u32 v12, s1, v3
	v_mul_lo_u32 v13, s0, v3
	v_add_u32_e32 v6, v11, v6
	v_add_u32_e32 v6, v6, v12
	v_mul_lo_u32 v14, v3, v6
	v_mul_hi_u32 v15, v3, v13
	v_mul_hi_u32 v16, v3, v6
	v_mul_hi_u32 v12, v4, v13
	v_mul_lo_u32 v13, v4, v13
	v_mul_hi_u32 v11, v4, v6
	v_add_co_u32_e32 v14, vcc, v15, v14
	v_addc_co_u32_e32 v15, vcc, 0, v16, vcc
	v_mul_lo_u32 v6, v4, v6
	v_add_co_u32_e32 v13, vcc, v14, v13
	v_addc_co_u32_e32 v12, vcc, v15, v12, vcc
	v_addc_co_u32_e32 v11, vcc, 0, v11, vcc
	v_add_co_u32_e32 v6, vcc, v12, v6
	v_addc_co_u32_e32 v11, vcc, 0, v11, vcc
	v_add_co_u32_e32 v6, vcc, v3, v6
	v_addc_co_u32_e32 v11, vcc, v4, v11, vcc
	v_mad_u64_u32 v[3:4], s[0:1], v9, v11, 0
	v_mul_hi_u32 v12, v9, v6
	v_add_co_u32_e32 v13, vcc, v12, v3
	v_addc_co_u32_e32 v14, vcc, 0, v4, vcc
	v_mad_u64_u32 v[3:4], s[0:1], v10, v6, 0
	v_mad_u64_u32 v[11:12], s[0:1], v10, v11, 0
	v_add_co_u32_e32 v3, vcc, v13, v3
	v_addc_co_u32_e32 v3, vcc, v14, v4, vcc
	v_addc_co_u32_e32 v4, vcc, 0, v12, vcc
	v_add_co_u32_e32 v6, vcc, v3, v11
	v_addc_co_u32_e32 v11, vcc, 0, v4, vcc
	v_mul_lo_u32 v12, s25, v6
	v_mul_lo_u32 v13, s24, v11
	v_mad_u64_u32 v[3:4], s[0:1], s24, v6, 0
	v_add3_u32 v4, v4, v13, v12
	v_sub_u32_e32 v12, v10, v4
	v_mov_b32_e32 v13, s25
	v_sub_co_u32_e32 v3, vcc, v9, v3
	v_subb_co_u32_e64 v12, s[0:1], v12, v13, vcc
	v_subrev_co_u32_e64 v13, s[0:1], s24, v3
	v_subbrev_co_u32_e64 v12, s[0:1], 0, v12, s[0:1]
	v_cmp_le_u32_e64 s[0:1], s25, v12
	v_cndmask_b32_e64 v14, 0, -1, s[0:1]
	v_cmp_le_u32_e64 s[0:1], s24, v13
	v_cndmask_b32_e64 v13, 0, -1, s[0:1]
	v_cmp_eq_u32_e64 s[0:1], s25, v12
	v_cndmask_b32_e64 v12, v14, v13, s[0:1]
	v_add_co_u32_e64 v13, s[0:1], 2, v6
	v_addc_co_u32_e64 v14, s[0:1], 0, v11, s[0:1]
	v_add_co_u32_e64 v15, s[0:1], 1, v6
	v_addc_co_u32_e64 v16, s[0:1], 0, v11, s[0:1]
	v_subb_co_u32_e32 v4, vcc, v10, v4, vcc
	v_cmp_ne_u32_e64 s[0:1], 0, v12
	v_cmp_le_u32_e32 vcc, s25, v4
	v_cndmask_b32_e64 v12, v16, v14, s[0:1]
	v_cndmask_b32_e64 v14, 0, -1, vcc
	v_cmp_le_u32_e32 vcc, s24, v3
	v_cndmask_b32_e64 v3, 0, -1, vcc
	v_cmp_eq_u32_e32 vcc, s25, v4
	v_cndmask_b32_e32 v3, v14, v3, vcc
	v_cmp_ne_u32_e32 vcc, 0, v3
	v_cndmask_b32_e64 v3, v15, v13, s[0:1]
	v_cndmask_b32_e32 v4, v11, v12, vcc
	v_cndmask_b32_e32 v3, v6, v3, vcc
.LBB0_4:                                ;   in Loop: Header=BB0_2 Depth=1
	s_andn2_saveexec_b64 s[0:1], s[26:27]
	s_cbranch_execz .LBB0_6
; %bb.5:                                ;   in Loop: Header=BB0_2 Depth=1
	v_cvt_f32_u32_e32 v3, s24
	s_sub_i32 s26, 0, s24
	v_rcp_iflag_f32_e32 v3, v3
	v_mul_f32_e32 v3, 0x4f7ffffe, v3
	v_cvt_u32_f32_e32 v3, v3
	v_mul_lo_u32 v4, s26, v3
	v_mul_hi_u32 v4, v3, v4
	v_add_u32_e32 v3, v3, v4
	v_mul_hi_u32 v3, v9, v3
	v_mul_lo_u32 v4, v3, s24
	v_add_u32_e32 v6, 1, v3
	v_sub_u32_e32 v4, v9, v4
	v_subrev_u32_e32 v11, s24, v4
	v_cmp_le_u32_e32 vcc, s24, v4
	v_cndmask_b32_e32 v4, v4, v11, vcc
	v_cndmask_b32_e32 v3, v3, v6, vcc
	v_add_u32_e32 v6, 1, v3
	v_cmp_le_u32_e32 vcc, s24, v4
	v_cndmask_b32_e32 v3, v3, v6, vcc
	v_mov_b32_e32 v4, v5
.LBB0_6:                                ;   in Loop: Header=BB0_2 Depth=1
	s_or_b64 exec, exec, s[0:1]
	v_mul_lo_u32 v6, v4, s24
	v_mul_lo_u32 v13, v3, s25
	v_mad_u64_u32 v[11:12], s[0:1], v3, s24, 0
	s_load_dwordx2 s[0:1], s[6:7], 0x0
	s_load_dwordx2 s[24:25], s[2:3], 0x0
	v_add3_u32 v6, v12, v13, v6
	v_sub_co_u32_e32 v9, vcc, v9, v11
	v_subb_co_u32_e32 v6, vcc, v10, v6, vcc
	s_waitcnt lgkmcnt(0)
	v_mul_lo_u32 v10, s0, v6
	v_mul_lo_u32 v11, s1, v9
	v_mad_u64_u32 v[7:8], s[0:1], s0, v9, v[7:8]
	s_add_u32 s22, s22, 1
	s_addc_u32 s23, s23, 0
	s_add_u32 s2, s2, 8
	v_mul_lo_u32 v6, s24, v6
	v_mul_lo_u32 v12, s25, v9
	v_mad_u64_u32 v[1:2], s[0:1], s24, v9, v[1:2]
	v_add3_u32 v8, v11, v8, v10
	s_addc_u32 s3, s3, 0
	v_mov_b32_e32 v9, s14
	s_add_u32 s6, s6, 8
	v_mov_b32_e32 v10, s15
	s_addc_u32 s7, s7, 0
	v_cmp_ge_u64_e32 vcc, s[22:23], v[9:10]
	s_add_u32 s20, s20, 8
	v_add3_u32 v2, v12, v2, v6
	s_addc_u32 s21, s21, 0
	s_cbranch_vccnz .LBB0_9
; %bb.7:                                ;   in Loop: Header=BB0_2 Depth=1
	v_mov_b32_e32 v10, v4
	v_mov_b32_e32 v9, v3
	s_branch .LBB0_2
.LBB0_8:
	v_mov_b32_e32 v1, v7
	v_mov_b32_e32 v3, v9
	;; [unrolled: 1-line block ×4, first 2 shown]
.LBB0_9:
	s_load_dwordx2 s[0:1], s[4:5], 0x28
	s_lshl_b64 s[6:7], s[14:15], 3
	s_add_u32 s2, s18, s6
	s_addc_u32 s3, s19, s7
                                        ; implicit-def: $sgpr14
                                        ; implicit-def: $vgpr11
	s_waitcnt lgkmcnt(0)
	v_cmp_gt_u64_e32 vcc, s[0:1], v[3:4]
	v_cmp_le_u64_e64 s[0:1], s[0:1], v[3:4]
	s_and_saveexec_b64 s[4:5], s[0:1]
	s_xor_b64 s[0:1], exec, s[4:5]
; %bb.10:
	s_mov_b32 s4, 0x4a7904b
	v_mul_hi_u32 v5, v0, s4
	s_mov_b32 s14, 0
                                        ; implicit-def: $vgpr7_vgpr8
	v_mul_u32_u24_e32 v5, 55, v5
	v_sub_u32_e32 v11, v0, v5
                                        ; implicit-def: $vgpr0
; %bb.11:
	s_or_saveexec_b64 s[4:5], s[0:1]
	s_load_dwordx2 s[2:3], s[2:3], 0x0
	v_mov_b32_e32 v5, s14
	v_mov_b32_e32 v6, s14
                                        ; implicit-def: $vgpr10
                                        ; implicit-def: $vgpr68
                                        ; implicit-def: $vgpr64
                                        ; implicit-def: $vgpr46
                                        ; implicit-def: $vgpr62
                                        ; implicit-def: $vgpr44
                                        ; implicit-def: $vgpr61
                                        ; implicit-def: $vgpr43
                                        ; implicit-def: $vgpr60
                                        ; implicit-def: $vgpr39
                                        ; implicit-def: $vgpr58
                                        ; implicit-def: $vgpr45
                                        ; implicit-def: $vgpr9
                                        ; implicit-def: $vgpr67
                                        ; implicit-def: $vgpr50
                                        ; implicit-def: $vgpr33
                                        ; implicit-def: $vgpr48
                                        ; implicit-def: $vgpr32
                                        ; implicit-def: $vgpr47
                                        ; implicit-def: $vgpr34
                                        ; implicit-def: $vgpr56
                                        ; implicit-def: $vgpr36
                                        ; implicit-def: $vgpr55
                                        ; implicit-def: $vgpr35
                                        ; implicit-def: $vgpr29
                                        ; implicit-def: $vgpr17
                                        ; implicit-def: $vgpr27
                                        ; implicit-def: $vgpr16
                                        ; implicit-def: $vgpr25
                                        ; implicit-def: $vgpr15
                                        ; implicit-def: $vgpr22
                                        ; implicit-def: $vgpr13
                                        ; implicit-def: $vgpr19
                                        ; implicit-def: $vgpr12
                                        ; implicit-def: $vgpr31
                                        ; implicit-def: $vgpr28
                                        ; implicit-def: $vgpr30
                                        ; implicit-def: $vgpr23
                                        ; implicit-def: $vgpr26
                                        ; implicit-def: $vgpr20
                                        ; implicit-def: $vgpr24
                                        ; implicit-def: $vgpr18
                                        ; implicit-def: $vgpr21
                                        ; implicit-def: $vgpr14
                                        ; implicit-def: $vgpr66
                                        ; implicit-def: $vgpr42
                                        ; implicit-def: $vgpr65
                                        ; implicit-def: $vgpr41
                                        ; implicit-def: $vgpr63
                                        ; implicit-def: $vgpr40
                                        ; implicit-def: $vgpr59
                                        ; implicit-def: $vgpr38
                                        ; implicit-def: $vgpr57
                                        ; implicit-def: $vgpr37
                                        ; implicit-def: $vgpr73
                                        ; implicit-def: $vgpr54
                                        ; implicit-def: $vgpr72
                                        ; implicit-def: $vgpr53
                                        ; implicit-def: $vgpr71
                                        ; implicit-def: $vgpr49
                                        ; implicit-def: $vgpr70
                                        ; implicit-def: $vgpr52
                                        ; implicit-def: $vgpr69
                                        ; implicit-def: $vgpr51
	s_xor_b64 exec, exec, s[4:5]
	s_cbranch_execz .LBB0_15
; %bb.12:
	s_add_u32 s0, s16, s6
	s_addc_u32 s1, s17, s7
	s_load_dwordx2 s[0:1], s[0:1], 0x0
	s_mov_b32 s6, 0x4a7904b
	v_mul_hi_u32 v9, v0, s6
                                        ; implicit-def: $vgpr14
                                        ; implicit-def: $vgpr21
                                        ; implicit-def: $vgpr18
                                        ; implicit-def: $vgpr24
                                        ; implicit-def: $vgpr20
                                        ; implicit-def: $vgpr26
                                        ; implicit-def: $vgpr23
                                        ; implicit-def: $vgpr30
                                        ; implicit-def: $vgpr28
                                        ; implicit-def: $vgpr31
                                        ; implicit-def: $vgpr19
                                        ; implicit-def: $vgpr13
                                        ; implicit-def: $vgpr22
                                        ; implicit-def: $vgpr15
                                        ; implicit-def: $vgpr25
                                        ; implicit-def: $vgpr16
                                        ; implicit-def: $vgpr27
                                        ; implicit-def: $vgpr17
                                        ; implicit-def: $vgpr29
	s_waitcnt lgkmcnt(0)
	v_mul_lo_u32 v10, s1, v3
	v_mul_lo_u32 v12, s0, v4
	v_mad_u64_u32 v[5:6], s[0:1], s0, v3, 0
	v_mul_u32_u24_e32 v9, 55, v9
	v_sub_u32_e32 v11, v0, v9
	v_add3_u32 v6, v6, v12, v10
	v_lshlrev_b64 v[5:6], 2, v[5:6]
	v_mov_b32_e32 v0, s9
	v_add_co_u32_e64 v9, s[0:1], s8, v5
	v_addc_co_u32_e64 v10, s[0:1], v0, v6, s[0:1]
	v_lshlrev_b64 v[5:6], 2, v[7:8]
                                        ; implicit-def: $vgpr12
	v_add_co_u32_e64 v0, s[0:1], v9, v5
	v_addc_co_u32_e64 v47, s[0:1], v10, v6, s[0:1]
	v_lshlrev_b32_e32 v5, 2, v11
	v_add_co_u32_e64 v9, s[0:1], v0, v5
	v_addc_co_u32_e64 v10, s[0:1], 0, v47, s[0:1]
	s_movk_i32 s0, 0x1000
	v_add_co_u32_e64 v7, s[0:1], s0, v9
	global_load_dword v68, v[9:10], off
	global_load_dword v39, v[9:10], off offset:2000
	global_load_dword v49, v[9:10], off offset:4000
	v_addc_co_u32_e64 v8, s[0:1], 0, v10, s[0:1]
	global_load_dword v34, v[9:10], off offset:1720
	global_load_dword v43, v[9:10], off offset:1500
	global_load_dword v32, v[9:10], off offset:1220
	global_load_dword v44, v[9:10], off offset:1000
	global_load_dword v33, v[9:10], off offset:720
	global_load_dword v46, v[9:10], off offset:500
	global_load_dword v67, v[9:10], off offset:220
	global_load_dword v38, v[9:10], off offset:3720
	global_load_dword v52, v[9:10], off offset:3500
	global_load_dword v37, v[9:10], off offset:3220
	global_load_dword v51, v[9:10], off offset:3000
	global_load_dword v35, v[9:10], off offset:2720
	global_load_dword v45, v[9:10], off offset:2500
	global_load_dword v36, v[9:10], off offset:2220
	global_load_dword v42, v[7:8], off offset:1124
	global_load_dword v54, v[7:8], off offset:904
	global_load_dword v41, v[7:8], off offset:624
	global_load_dword v53, v[7:8], off offset:404
	global_load_dword v40, v[7:8], off offset:124
	v_mov_b32_e32 v6, 0
	v_cmp_gt_u32_e64 s[0:1], 15, v11
	v_mov_b32_e32 v5, 0
	s_and_saveexec_b64 s[6:7], s[0:1]
	s_cbranch_execz .LBB0_14
; %bb.13:
	v_or_b32_e32 v5, 0x550, v11
	v_lshlrev_b64 v[5:6], 2, v[5:6]
	global_load_dword v48, v[9:10], off offset:440
	global_load_dword v17, v[9:10], off offset:940
	;; [unrolled: 1-line block ×8, first 2 shown]
	v_add_co_u32_e64 v5, s[0:1], v0, v5
	v_addc_co_u32_e64 v6, s[0:1], v47, v6, s[0:1]
	global_load_dword v20, v[7:8], off offset:344
	global_load_dword v23, v[7:8], off offset:844
	global_load_dword v28, v[5:6], off
	s_waitcnt vmcnt(10)
	v_lshrrev_b32_e32 v5, 16, v48
	s_waitcnt vmcnt(9)
	v_lshrrev_b32_e32 v29, 16, v17
	;; [unrolled: 2-line block ×8, first 2 shown]
	v_mov_b32_e32 v6, v48
	s_waitcnt vmcnt(2)
	v_lshrrev_b32_e32 v26, 16, v20
	s_waitcnt vmcnt(1)
	v_lshrrev_b32_e32 v30, 16, v23
	;; [unrolled: 2-line block ×3, first 2 shown]
.LBB0_14:
	s_or_b64 exec, exec, s[6:7]
	s_waitcnt vmcnt(21)
	v_lshrrev_b32_e32 v10, 16, v68
	s_waitcnt vmcnt(13)
	v_lshrrev_b32_e32 v64, 16, v46
	v_lshrrev_b32_e32 v62, 16, v44
	v_lshrrev_b32_e32 v61, 16, v43
	v_lshrrev_b32_e32 v60, 16, v39
	s_waitcnt vmcnt(6)
	v_lshrrev_b32_e32 v58, 16, v45
	v_lshrrev_b32_e32 v69, 16, v51
	v_lshrrev_b32_e32 v70, 16, v52
	;; [unrolled: 5-line block ×3, first 2 shown]
	v_lshrrev_b32_e32 v50, 16, v33
	v_lshrrev_b32_e32 v48, 16, v32
	;; [unrolled: 1-line block ×7, first 2 shown]
	s_waitcnt vmcnt(0)
	v_lshrrev_b32_e32 v63, 16, v40
	v_lshrrev_b32_e32 v65, 16, v41
	;; [unrolled: 1-line block ×3, first 2 shown]
.LBB0_15:
	s_or_b64 exec, exec, s[4:5]
	v_sub_f16_e32 v7, v64, v73
	v_add_f16_e32 v0, v54, v46
	s_mov_b32 s14, 0xbbad
	v_mul_f16_e32 v8, 0xb482, v7
	v_sub_f16_e32 v79, v62, v72
	v_fma_f16 v74, v0, s14, -v8
	v_add_f16_e32 v78, v53, v44
	s_movk_i32 s8, 0x3abb
	v_mul_f16_e32 v75, 0x3853, v79
	v_add_f16_e32 v74, v74, v68
	v_fma_f16 v76, v78, s8, -v75
	v_sub_f16_e32 v81, v61, v71
	v_add_f16_e32 v74, v74, v76
	v_add_f16_e32 v80, v49, v43
	s_mov_b32 s7, 0xb93d
	v_mul_f16_e32 v76, 0xba0c, v81
	v_fma_f16 v77, v80, s7, -v76
	v_sub_f16_e32 v83, v60, v70
	v_add_f16_e32 v74, v74, v77
	v_add_f16_e32 v82, v52, v39
	s_movk_i32 s9, 0x36a6
	v_mul_f16_e32 v77, 0x3b47, v83
	v_fma_f16 v84, v82, s9, -v77
	v_sub_f16_e32 v85, v58, v69
	v_add_f16_e32 v74, v74, v84
	v_add_f16_e32 v84, v51, v45
	s_mov_b32 s6, 0xb08e
	v_mul_f16_e32 v86, 0xbbeb, v85
	v_fma_f16 v87, v84, s6, -v86
	v_sub_f16_e32 v88, v50, v66
	v_add_f16_e32 v74, v74, v87
	v_add_f16_e32 v87, v42, v33
	v_mul_f16_e32 v89, 0xb482, v88
	v_sub_f16_e32 v92, v48, v65
	v_fma_f16 v90, v87, s14, -v89
	v_add_f16_e32 v91, v41, v32
	v_mul_f16_e32 v93, 0x3853, v92
	v_add_f16_e32 v90, v90, v67
	v_fma_f16 v94, v91, s8, -v93
	s_mov_b32 s18, 0xbb47b853
	v_add_f16_e32 v90, v90, v94
	s_mov_b32 s16, 0x36a63abb
	v_pk_mul_f16 v94, v7, s18 op_sel_hi:[0,1]
	s_mov_b32 s20, 0xba0cbb47
	v_pk_fma_f16 v95, v0, s16, v94 op_sel_hi:[0,1,1] neg_lo:[0,0,1] neg_hi:[0,0,1]
	s_mov_b32 s17, 0xb93d36a6
	v_pk_mul_f16 v96, v79, s20 op_sel_hi:[0,1]
	v_pk_add_f16 v95, v95, v68 op_sel_hi:[1,0]
	v_pk_fma_f16 v97, v78, s17, v96 op_sel_hi:[0,1,1] neg_lo:[0,0,1] neg_hi:[0,0,1]
	s_mov_b32 s22, 0x3482bbeb
	v_pk_add_f16 v95, v95, v97
	s_mov_b32 s19, 0xbbadb08e
	v_pk_mul_f16 v97, v81, s22 op_sel_hi:[0,1]
	v_pk_fma_f16 v98, v80, s19, v97 op_sel_hi:[0,1,1] neg_lo:[0,0,1] neg_hi:[0,0,1]
	s_mov_b32 s24, 0x3bebba0c
	v_pk_add_f16 v95, v95, v98
	s_mov_b32 s21, 0xb08eb93d
	v_pk_mul_f16 v98, v83, s24 op_sel_hi:[0,1]
	v_pk_fma_f16 v99, v82, s21, v98 op_sel_hi:[0,1,1] neg_lo:[0,0,1] neg_hi:[0,0,1]
	s_mov_b32 s26, 0x3853b482
	v_pk_add_f16 v95, v95, v99
	s_mov_b32 s23, 0x3abbbbad
	v_pk_mul_f16 v99, v85, s26 op_sel_hi:[0,1]
	v_pk_fma_f16 v100, v84, s23, v99 op_sel_hi:[0,1,1] neg_lo:[0,0,1] neg_hi:[0,0,1]
	s_mov_b32 s28, 0xba0cbbeb
	v_pk_add_f16 v95, v95, v100
	s_mov_b32 s25, 0xb93db08e
	v_pk_mul_f16 v100, v7, s28 op_sel_hi:[0,1]
	s_mov_b32 s30, 0x3beb3482
	v_pk_fma_f16 v101, v0, s25, v100 op_sel_hi:[0,1,1] neg_lo:[0,0,1] neg_hi:[0,0,1]
	s_mov_b32 s27, 0xb08ebbad
	v_pk_mul_f16 v102, v79, s30 op_sel_hi:[0,1]
	v_pk_add_f16 v101, v101, v68 op_sel_hi:[1,0]
	v_pk_fma_f16 v103, v78, s27, v102 op_sel_hi:[0,1,1] neg_lo:[0,0,1] neg_hi:[0,0,1]
	s_mov_b32 s33, 0xb8533b47
	v_pk_add_f16 v101, v101, v103
	s_mov_b32 s29, 0x3abb36a6
	v_pk_mul_f16 v103, v81, s33 op_sel_hi:[0,1]
	v_pk_fma_f16 v104, v80, s29, v103 op_sel_hi:[0,1,1] neg_lo:[0,0,1] neg_hi:[0,0,1]
	s_mov_b32 s35, 0xb482b853
	v_pk_add_f16 v101, v101, v104
	s_mov_b32 s31, 0xbbad3abb
	v_pk_mul_f16 v104, v83, s35 op_sel_hi:[0,1]
	;; [unrolled: 5-line block ×3, first 2 shown]
	v_pk_fma_f16 v106, v84, s34, v105 op_sel_hi:[0,1,1] neg_lo:[0,0,1] neg_hi:[0,0,1]
	s_mov_b32 s15, 0xffff
	v_pk_add_f16 v101, v101, v106
	v_bfi_b32 v8, s15, v8, v100
	v_mul_f16_e32 v100, 0xbbad, v0
	v_pk_mul_f16 v106, v0, s25 op_sel_hi:[0,1]
	v_bfi_b32 v100, s15, v100, v106
	v_pk_add_f16 v8, v8, v100
	v_bfi_b32 v75, s15, v75, v102
	v_mul_f16_e32 v100, 0x3abb, v78
	v_pk_mul_f16 v102, v78, s27 op_sel_hi:[0,1]
	v_bfi_b32 v100, s15, v100, v102
	v_pk_add_f16 v75, v75, v100
	v_pk_add_f16 v8, v8, v68 op_sel_hi:[1,0]
	v_pk_add_f16 v8, v8, v75
	v_bfi_b32 v75, s15, v76, v103
	v_mul_f16_e32 v76, 0xb93d, v80
	v_pk_mul_f16 v100, v80, s29 op_sel_hi:[0,1]
	v_bfi_b32 v76, s15, v76, v100
	v_pk_add_f16 v75, v75, v76
	v_pk_add_f16 v8, v8, v75
	v_bfi_b32 v75, s15, v77, v104
	v_mul_f16_e32 v76, 0x36a6, v82
	v_pk_mul_f16 v77, v82, s31 op_sel_hi:[0,1]
	v_bfi_b32 v76, s15, v76, v77
	v_pk_add_f16 v75, v75, v76
	v_pk_add_f16 v8, v8, v75
	v_mul_f16_e32 v75, 0xb08e, v84
	v_pk_mul_f16 v77, v84, s34 op_sel_hi:[0,1]
	v_bfi_b32 v76, s15, v86, v105
	v_bfi_b32 v75, s15, v75, v77
	v_pk_add_f16 v75, v76, v75
	v_pk_add_f16 v77, v8, v75
	v_add_f16_e32 v8, v68, v46
	v_add_f16_e32 v8, v8, v44
	v_add_f16_e32 v8, v8, v43
	v_add_f16_e32 v8, v8, v39
	v_add_f16_e32 v8, v8, v45
	v_add_f16_e32 v8, v8, v51
	v_add_f16_e32 v8, v52, v8
	v_add_f16_e32 v8, v49, v8
	v_add_f16_e32 v8, v53, v8
	v_sub_f16_e32 v86, v47, v63
	v_add_f16_e32 v8, v54, v8
	v_add_f16_e32 v100, v40, v34
	v_alignbit_b32 v76, v74, v101, 16
	v_alignbit_b32 v75, v101, v95, 16
	v_pack_b32_f16 v74, v8, v95
	v_mul_f16_e32 v95, 0xba0c, v86
	v_fma_f16 v8, v100, s7, -v95
	v_add_f16_e32 v90, v90, v8
	v_mad_u32_u24 v8, v11, 22, 0
	v_sub_f16_e32 v102, v56, v59
	ds_write_b128 v8, v[74:77]
	v_add_f16_e32 v101, v38, v36
	v_mul_f16_e32 v74, 0x3b47, v102
	v_fma_f16 v75, v101, s9, -v74
	v_sub_f16_e32 v103, v55, v57
	v_add_f16_e32 v75, v90, v75
	v_add_f16_e32 v90, v37, v35
	v_mul_f16_e32 v76, 0xbbeb, v103
	v_fma_f16 v77, v90, s6, -v76
	s_mov_b32 s38, 0x36a6b08e
	v_add_f16_e32 v75, v75, v77
	v_fma_f16 v77, v0, s8, v94
	s_mov_b32 s37, 0xbb47bbeb
	v_pk_mul_f16 v0, v0, s38 op_sel_hi:[0,1]
	s_mov_b32 s40, 0xb93dbbad
	v_fma_f16 v94, v78, s9, v96
	v_pk_fma_f16 v0, v7, s37, v0 op_sel_hi:[0,1,1]
	s_mov_b32 s39, 0xba0c3482
	v_pk_mul_f16 v78, v78, s40 op_sel_hi:[0,1]
	v_pk_add_f16 v0, v0, v68 op_sel_hi:[1,0]
	v_pk_fma_f16 v78, v79, s39, v78 op_sel_hi:[0,1,1]
	s_mov_b32 s42, 0xbbad36a6
	v_pk_add_f16 v0, v0, v78
	s_mov_b32 s41, 0x34823b47
	v_pk_mul_f16 v78, v80, s42 op_sel_hi:[0,1]
	v_pk_fma_f16 v78, v81, s41, v78 op_sel_hi:[0,1,1]
	s_mov_b32 s44, 0xb08e3abb
	v_pk_add_f16 v0, v0, v78
	s_mov_b32 s43, 0x3bebb853
	v_pk_mul_f16 v78, v82, s44 op_sel_hi:[0,1]
	v_add_f16_e32 v77, v77, v68
	v_pk_fma_f16 v78, v83, s43, v78 op_sel_hi:[0,1,1]
	s_mov_b32 s46, 0x3abbb93d
	v_add_f16_e32 v77, v77, v94
	v_fma_f16 v94, v80, s6, v97
	v_pk_add_f16 v0, v0, v78
	s_mov_b32 s45, 0x3853ba0c
	v_pk_mul_f16 v78, v84, s46 op_sel_hi:[0,1]
	v_add_f16_e32 v77, v77, v94
	v_fma_f16 v94, v82, s7, v98
	v_pk_fma_f16 v78, v85, s45, v78 op_sel_hi:[0,1,1]
	v_add_f16_e32 v77, v77, v94
	v_fma_f16 v96, v84, s14, v99
	v_pk_add_f16 v0, v0, v78
	v_add_f16_e32 v77, v77, v96
	ds_write_b32 v8, v0 offset:16
	ds_write_b16 v8, v77 offset:20
	v_pk_mul_f16 v0, v88, s18 op_sel_hi:[0,1]
	v_fma_f16 v77, v87, s8, v0
	v_pk_fma_f16 v0, v87, s16, v0 op_sel_hi:[0,1,1] neg_lo:[0,0,1] neg_hi:[0,0,1]
	v_pk_mul_f16 v78, v92, s20 op_sel_hi:[0,1]
	v_pk_add_f16 v0, v0, v67 op_sel_hi:[1,0]
	v_fma_f16 v80, v91, s9, v78
	v_pk_fma_f16 v78, v91, s17, v78 op_sel_hi:[0,1,1] neg_lo:[0,0,1] neg_hi:[0,0,1]
	v_add_f16_e32 v77, v77, v67
	v_pk_add_f16 v0, v0, v78
	v_pk_mul_f16 v78, v86, s22 op_sel_hi:[0,1]
	v_add_f16_e32 v77, v77, v80
	v_fma_f16 v80, v100, s6, v78
	v_pk_fma_f16 v78, v100, s19, v78 op_sel_hi:[0,1,1] neg_lo:[0,0,1] neg_hi:[0,0,1]
	v_pk_add_f16 v0, v0, v78
	v_pk_mul_f16 v78, v102, s24 op_sel_hi:[0,1]
	v_add_f16_e32 v77, v77, v80
	v_fma_f16 v80, v101, s7, v78
	v_pk_fma_f16 v78, v101, s21, v78 op_sel_hi:[0,1,1] neg_lo:[0,0,1] neg_hi:[0,0,1]
	v_pk_add_f16 v0, v0, v78
	v_pk_mul_f16 v78, v103, s26 op_sel_hi:[0,1]
	v_add_f16_e32 v77, v77, v80
	v_fma_f16 v80, v90, s14, v78
	v_add_f16_e32 v80, v77, v80
	v_pk_fma_f16 v77, v90, s23, v78 op_sel_hi:[0,1,1] neg_lo:[0,0,1] neg_hi:[0,0,1]
	v_pk_add_f16 v0, v0, v77
	v_pk_mul_f16 v77, v88, s28 op_sel_hi:[0,1]
	v_add_f16_e32 v94, v67, v33
	v_pk_fma_f16 v78, v87, s25, v77 op_sel_hi:[0,1,1] neg_lo:[0,0,1] neg_hi:[0,0,1]
	v_pk_mul_f16 v81, v92, s30 op_sel_hi:[0,1]
	v_add_f16_e32 v94, v94, v32
	v_mul_f16_e32 v96, 0xbbad, v87
	v_pk_add_f16 v78, v78, v67 op_sel_hi:[1,0]
	v_pk_fma_f16 v82, v91, s27, v81 op_sel_hi:[0,1,1] neg_lo:[0,0,1] neg_hi:[0,0,1]
	v_bfi_b32 v77, s15, v89, v77
	v_pk_mul_f16 v89, v87, s25 op_sel_hi:[0,1]
	v_add_f16_e32 v94, v94, v34
	v_mul_f16_e32 v7, 0x3abb, v91
	v_pk_add_f16 v78, v78, v82
	v_pk_mul_f16 v82, v86, s33 op_sel_hi:[0,1]
	v_bfi_b32 v89, s15, v96, v89
	v_pk_mul_f16 v96, v91, s27 op_sel_hi:[0,1]
	v_add_f16_e32 v94, v94, v36
	v_pk_fma_f16 v83, v100, s29, v82 op_sel_hi:[0,1,1] neg_lo:[0,0,1] neg_hi:[0,0,1]
	v_pk_add_f16 v77, v77, v89
	v_bfi_b32 v81, s15, v93, v81
	v_bfi_b32 v7, s15, v7, v96
	v_add_f16_e32 v94, v94, v35
	v_mul_f16_e32 v68, 0xb93d, v100
	v_pk_add_f16 v78, v78, v83
	v_pk_mul_f16 v83, v102, s35 op_sel_hi:[0,1]
	v_pk_mul_f16 v89, v100, s29 op_sel_hi:[0,1]
	v_pk_add_f16 v77, v77, v67 op_sel_hi:[1,0]
	v_pk_add_f16 v7, v81, v7
	v_add_f16_e32 v94, v94, v37
	v_pk_fma_f16 v84, v101, s31, v83 op_sel_hi:[0,1,1] neg_lo:[0,0,1] neg_hi:[0,0,1]
	v_pk_add_f16 v7, v77, v7
	v_bfi_b32 v77, s15, v95, v82
	v_bfi_b32 v68, s15, v68, v89
	v_add_f16_e32 v94, v38, v94
	v_mul_f16_e32 v79, 0x36a6, v101
	v_pk_add_f16 v78, v78, v84
	v_pk_mul_f16 v84, v103, s36 op_sel_hi:[0,1]
	v_pk_mul_f16 v93, v101, s31 op_sel_hi:[0,1]
	v_pk_add_f16 v68, v77, v68
	v_add_f16_e32 v94, v40, v94
	v_pk_fma_f16 v85, v90, s34, v84 op_sel_hi:[0,1,1] neg_lo:[0,0,1] neg_hi:[0,0,1]
	v_pk_add_f16 v7, v7, v68
	v_bfi_b32 v68, s15, v74, v83
	v_bfi_b32 v74, s15, v79, v93
	v_add_f16_e32 v94, v41, v94
	v_pk_add_f16 v78, v78, v85
	v_mul_f16_e32 v85, 0xb08e, v90
	v_pk_mul_f16 v96, v90, s34 op_sel_hi:[0,1]
	v_pk_add_f16 v68, v68, v74
	v_add_f16_e32 v94, v42, v94
	v_pk_add_f16 v7, v7, v68
	v_bfi_b32 v68, s15, v76, v84
	v_bfi_b32 v74, s15, v85, v96
	v_pk_add_f16 v68, v68, v74
	v_alignbit_b32 v76, v75, v78, 16
	v_alignbit_b32 v75, v78, v0, 16
	v_pack_b32_f16 v74, v94, v0
	v_pk_mul_f16 v0, v87, s38 op_sel_hi:[0,1]
	v_pk_add_f16 v77, v7, v68
	v_pk_fma_f16 v0, v88, s37, v0 op_sel_hi:[0,1,1]
	v_pk_mul_f16 v7, v91, s40 op_sel_hi:[0,1]
	v_pk_add_f16 v0, v0, v67 op_sel_hi:[1,0]
	v_pk_fma_f16 v7, v92, s39, v7 op_sel_hi:[0,1,1]
	v_pk_add_f16 v0, v0, v7
	v_pk_mul_f16 v7, v100, s42 op_sel_hi:[0,1]
	v_pk_fma_f16 v7, v86, s41, v7 op_sel_hi:[0,1,1]
	v_pk_add_f16 v0, v0, v7
	v_pk_mul_f16 v7, v101, s44 op_sel_hi:[0,1]
	;; [unrolled: 3-line block ×3, first 2 shown]
	v_pk_fma_f16 v7, v103, s45, v7 op_sel_hi:[0,1,1]
	v_pk_add_f16 v0, v0, v7
	v_cmp_gt_u32_e64 s[0:1], 15, v11
	ds_write_b128 v8, v[74:77] offset:1210
	ds_write_b32 v8, v0 offset:1226
	ds_write_b16 v8, v80 offset:1230
	s_and_saveexec_b64 s[4:5], s[0:1]
	s_cbranch_execz .LBB0_17
; %bb.16:
	v_sub_f16_e32 v68, v29, v31
	v_add_f16_e32 v7, v17, v28
	v_mul_f16_e32 v74, 0xb482, v68
	v_sub_f16_e32 v79, v27, v30
	v_add_f16_e32 v78, v16, v23
	v_mul_f16_e32 v76, 0x3853, v79
	v_sub_f16_e32 v81, v25, v26
	v_fma_f16 v91, v7, s14, -v74
	v_add_f16_e32 v80, v15, v20
	v_mul_f16_e32 v82, 0xba0c, v81
	v_sub_f16_e32 v85, v22, v24
	v_add_f16_e32 v91, v6, v91
	v_fma_f16 v92, v78, s8, -v76
	v_add_f16_e32 v83, v13, v18
	v_mul_f16_e32 v86, 0x3b47, v85
	v_sub_f16_e32 v89, v19, v21
	v_add_f16_e32 v91, v91, v92
	v_fma_f16 v92, v80, s7, -v82
	v_add_f16_e32 v87, v12, v14
	v_mul_f16_e32 v90, 0xbbeb, v89
	v_add_f16_e32 v91, v91, v92
	v_fma_f16 v92, v83, s9, -v86
	v_add_f16_e32 v91, v91, v92
	v_fma_f16 v92, v87, s6, -v90
	v_add_f16_e32 v91, v91, v92
	v_pk_mul_f16 v92, v68, s18 op_sel_hi:[0,1]
	v_pk_mul_f16 v93, v79, s20 op_sel_hi:[0,1]
	v_fma_f16 v97, v7, s8, v92
	v_pk_fma_f16 v92, v7, s16, v92 op_sel_hi:[0,1,1] neg_lo:[0,0,1] neg_hi:[0,0,1]
	v_pk_mul_f16 v94, v81, s22 op_sel_hi:[0,1]
	v_fma_f16 v98, v78, s9, v93
	v_pk_add_f16 v92, v6, v92 op_sel_hi:[0,1]
	v_pk_fma_f16 v93, v78, s17, v93 op_sel_hi:[0,1,1] neg_lo:[0,0,1] neg_hi:[0,0,1]
	v_pk_mul_f16 v95, v85, s24 op_sel_hi:[0,1]
	v_pk_add_f16 v92, v92, v93
	v_pk_fma_f16 v93, v80, s19, v94 op_sel_hi:[0,1,1] neg_lo:[0,0,1] neg_hi:[0,0,1]
	v_pk_mul_f16 v96, v89, s26 op_sel_hi:[0,1]
	v_add_f16_e32 v97, v6, v97
	v_pk_add_f16 v92, v92, v93
	v_pk_fma_f16 v93, v83, s21, v95 op_sel_hi:[0,1,1] neg_lo:[0,0,1] neg_hi:[0,0,1]
	v_add_f16_e32 v97, v97, v98
	v_fma_f16 v98, v80, s6, v94
	v_pk_add_f16 v92, v92, v93
	v_pk_fma_f16 v93, v87, s23, v96 op_sel_hi:[0,1,1] neg_lo:[0,0,1] neg_hi:[0,0,1]
	v_add_f16_e32 v0, v6, v17
	v_mul_f16_e32 v67, 0xbbad, v7
	v_add_f16_e32 v97, v97, v98
	v_fma_f16 v98, v83, s7, v95
	v_pk_add_f16 v92, v92, v93
	v_pk_mul_f16 v93, v7, s25 op_sel_hi:[0,1]
	v_pk_mul_f16 v94, v68, s28 op_sel_hi:[0,1]
	v_add_f16_e32 v0, v0, v16
	v_mul_f16_e32 v75, 0x3abb, v78
	v_add_f16_e32 v97, v97, v98
	v_fma_f16 v98, v87, s14, v96
	v_pk_mul_f16 v95, v78, s27 op_sel_hi:[0,1]
	v_pk_mul_f16 v96, v79, s30 op_sel_hi:[0,1]
	v_bfi_b32 v74, s15, v74, v94
	v_bfi_b32 v67, s15, v67, v93
	v_add_f16_e32 v0, v0, v15
	v_pk_add_f16 v67, v74, v67
	v_bfi_b32 v74, s15, v76, v96
	v_bfi_b32 v75, s15, v75, v95
	v_add_f16_e32 v0, v0, v13
	v_mul_f16_e32 v77, 0xb93d, v80
	v_add_f16_e32 v97, v97, v98
	v_pk_mul_f16 v98, v80, s29 op_sel_hi:[0,1]
	v_pk_mul_f16 v99, v81, s33 op_sel_hi:[0,1]
	v_pk_add_f16 v67, v6, v67 op_sel_hi:[0,1]
	v_pk_add_f16 v74, v74, v75
	v_add_f16_e32 v0, v0, v12
	v_pk_add_f16 v67, v67, v74
	v_bfi_b32 v74, s15, v82, v99
	v_bfi_b32 v75, s15, v77, v98
	v_add_f16_e32 v0, v0, v14
	v_mul_f16_e32 v84, 0x36a6, v83
	v_pk_mul_f16 v100, v83, s31 op_sel_hi:[0,1]
	v_pk_mul_f16 v101, v85, s35 op_sel_hi:[0,1]
	v_pk_add_f16 v74, v74, v75
	v_add_f16_e32 v0, v18, v0
	v_pk_add_f16 v67, v67, v74
	v_bfi_b32 v74, s15, v86, v101
	v_bfi_b32 v75, s15, v84, v100
	v_add_f16_e32 v0, v20, v0
	v_mul_f16_e32 v88, 0xb08e, v87
	v_pk_mul_f16 v102, v87, s34 op_sel_hi:[0,1]
	v_pk_mul_f16 v103, v89, s36 op_sel_hi:[0,1]
	v_pk_add_f16 v74, v74, v75
	v_add_f16_e32 v0, v23, v0
	v_pk_add_f16 v67, v67, v74
	v_bfi_b32 v74, s15, v90, v103
	v_bfi_b32 v75, s15, v88, v102
	v_add_f16_e32 v0, v28, v0
	v_pk_add_f16 v74, v74, v75
	v_pk_add_f16 v77, v67, v74
	v_pack_b32_f16 v74, v0, v92
	v_pk_mul_f16 v0, v7, s38 op_sel_hi:[0,1]
	v_pk_fma_f16 v104, v7, s25, v94 op_sel_hi:[0,1,1] neg_lo:[0,0,1] neg_hi:[0,0,1]
	v_pk_fma_f16 v0, v68, s37, v0 op_sel_hi:[0,1,1]
	v_pk_add_f16 v104, v6, v104 op_sel_hi:[0,1]
	v_pk_add_f16 v0, v6, v0 op_sel_hi:[0,1]
	v_pk_mul_f16 v6, v78, s40 op_sel_hi:[0,1]
	v_pk_fma_f16 v6, v79, s39, v6 op_sel_hi:[0,1,1]
	v_pk_add_f16 v0, v0, v6
	v_pk_mul_f16 v6, v80, s42 op_sel_hi:[0,1]
	v_pk_fma_f16 v105, v78, s27, v96 op_sel_hi:[0,1,1] neg_lo:[0,0,1] neg_hi:[0,0,1]
	v_pk_fma_f16 v6, v81, s41, v6 op_sel_hi:[0,1,1]
	v_pk_add_f16 v104, v104, v105
	v_pk_fma_f16 v105, v80, s29, v99 op_sel_hi:[0,1,1] neg_lo:[0,0,1] neg_hi:[0,0,1]
	v_pk_add_f16 v0, v0, v6
	v_pk_mul_f16 v6, v83, s44 op_sel_hi:[0,1]
	v_pk_add_f16 v104, v104, v105
	v_pk_fma_f16 v105, v83, s31, v101 op_sel_hi:[0,1,1] neg_lo:[0,0,1] neg_hi:[0,0,1]
	v_pk_fma_f16 v6, v85, s43, v6 op_sel_hi:[0,1,1]
	v_pk_add_f16 v104, v104, v105
	v_pk_fma_f16 v105, v87, s34, v103 op_sel_hi:[0,1,1] neg_lo:[0,0,1] neg_hi:[0,0,1]
	v_pk_add_f16 v0, v0, v6
	v_pk_mul_f16 v6, v87, s46 op_sel_hi:[0,1]
	v_pk_add_f16 v104, v104, v105
	v_pk_fma_f16 v6, v89, s45, v6 op_sel_hi:[0,1,1]
	v_alignbit_b32 v76, v91, v104, 16
	v_alignbit_b32 v75, v104, v92, 16
	v_pk_add_f16 v0, v0, v6
	ds_write_b128 v8, v[74:77] offset:2420
	ds_write_b32 v8, v0 offset:2436
	ds_write_b16 v8, v97 offset:2440
.LBB0_17:
	s_or_b64 exec, exec, s[4:5]
	v_add_f16_e32 v0, v10, v64
	v_add_f16_e32 v0, v0, v62
	;; [unrolled: 1-line block ×9, first 2 shown]
	v_sub_f16_e32 v6, v46, v54
	v_add_f16_e32 v67, v73, v0
	v_add_f16_e32 v0, v73, v64
	v_mul_f16_e32 v46, 0xb482, v6
	v_sub_f16_e32 v44, v44, v53
	v_fma_f16 v54, v0, s14, v46
	v_add_f16_e32 v62, v72, v62
	v_mul_f16_e32 v64, 0x3853, v44
	v_add_f16_e32 v54, v54, v10
	v_fma_f16 v68, v62, s8, v64
	v_sub_f16_e32 v43, v43, v49
	v_add_f16_e32 v54, v54, v68
	v_add_f16_e32 v61, v71, v61
	v_mul_f16_e32 v68, 0xba0c, v43
	v_sub_f16_e32 v39, v39, v52
	v_fma_f16 v71, v61, s7, v68
	v_add_f16_e32 v60, v70, v60
	v_mul_f16_e32 v70, 0x3b47, v39
	v_add_f16_e32 v54, v54, v71
	v_fma_f16 v71, v60, s9, v70
	v_sub_f16_e32 v45, v45, v51
	v_pk_mul_f16 v51, v6, s18 op_sel_hi:[0,1]
	v_add_f16_e32 v54, v54, v71
	v_add_f16_e32 v58, v69, v58
	v_fma_f16 v69, v0, s8, -v51
	v_pk_fma_f16 v51, v0, s16, v51 op_sel_hi:[0,1,1]
	v_pk_mul_f16 v71, v44, s20 op_sel_hi:[0,1]
	v_pk_add_f16 v51, v51, v10 op_sel_hi:[1,0]
	v_fma_f16 v72, v62, s9, -v71
	v_pk_fma_f16 v71, v62, s17, v71 op_sel_hi:[0,1,1]
	v_add_f16_e32 v69, v69, v10
	v_pk_add_f16 v51, v51, v71
	v_pk_mul_f16 v71, v43, s22 op_sel_hi:[0,1]
	v_add_f16_e32 v69, v69, v72
	v_fma_f16 v72, v61, s6, -v71
	v_pk_fma_f16 v71, v61, s19, v71 op_sel_hi:[0,1,1]
	v_pk_add_f16 v51, v51, v71
	v_pk_mul_f16 v71, v39, s24 op_sel_hi:[0,1]
	v_add_f16_e32 v69, v69, v72
	v_fma_f16 v72, v60, s7, -v71
	v_pk_fma_f16 v71, v60, s21, v71 op_sel_hi:[0,1,1]
	v_add_f16_e32 v69, v69, v72
	v_pk_add_f16 v51, v51, v71
	v_pk_mul_f16 v71, v58, s23 op_sel_hi:[0,1]
	v_pk_mul_f16 v72, v45, s26 op_sel_hi:[0,1]
	v_pk_fma_f16 v73, v58, s23, v72 op_sel_hi:[0,1,1]
	v_sub_f16_e32 v71, v71, v72
	v_pk_mul_f16 v72, v6, s28 op_sel_hi:[0,1]
	v_pk_mul_f16 v6, v6, s37 op_sel_hi:[0,1]
	v_mul_f16_e32 v7, 0xbbad, v0
	v_add_f16_e32 v69, v69, v71
	v_pk_add_f16 v71, v51, v73
	v_pk_mul_f16 v51, v0, s25 op_sel_hi:[0,1]
	v_pk_fma_f16 v73, v0, s25, v72 op_sel_hi:[0,1,1]
	v_pk_fma_f16 v0, v0, s38, v6 op_sel_hi:[0,1,1] neg_lo:[0,0,1] neg_hi:[0,0,1]
	v_pk_mul_f16 v6, v44, s39 op_sel_hi:[0,1]
	v_pk_add_f16 v0, v0, v10 op_sel_hi:[1,0]
	v_pk_fma_f16 v6, v62, s40, v6 op_sel_hi:[0,1,1] neg_lo:[0,0,1] neg_hi:[0,0,1]
	v_pk_add_f16 v0, v0, v6
	v_pk_mul_f16 v6, v43, s41 op_sel_hi:[0,1]
	v_pk_fma_f16 v6, v61, s42, v6 op_sel_hi:[0,1,1] neg_lo:[0,0,1] neg_hi:[0,0,1]
	v_pk_add_f16 v0, v0, v6
	v_pk_mul_f16 v6, v39, s43 op_sel_hi:[0,1]
	v_pk_mul_f16 v75, v44, s30 op_sel_hi:[0,1]
	v_pk_fma_f16 v6, v60, s44, v6 op_sel_hi:[0,1,1] neg_lo:[0,0,1] neg_hi:[0,0,1]
	v_pk_add_f16 v73, v73, v10 op_sel_hi:[1,0]
	v_pk_fma_f16 v76, v62, s27, v75 op_sel_hi:[0,1,1]
	v_pk_mul_f16 v77, v43, s33 op_sel_hi:[0,1]
	v_pk_add_f16 v0, v0, v6
	v_pk_mul_f16 v6, v45, s45 op_sel_hi:[0,1]
	v_pk_add_f16 v73, v73, v76
	v_pk_fma_f16 v78, v61, s29, v77 op_sel_hi:[0,1,1]
	v_pk_mul_f16 v79, v39, s35 op_sel_hi:[0,1]
	v_pk_fma_f16 v6, v58, s46, v6 op_sel_hi:[0,1,1] neg_lo:[0,0,1] neg_hi:[0,0,1]
	v_mul_f16_e32 v52, 0x36a6, v60
	v_pk_add_f16 v73, v73, v78
	v_pk_mul_f16 v78, v60, s31 op_sel_hi:[0,1]
	v_pk_fma_f16 v80, v60, s31, v79 op_sel_hi:[0,1,1]
	v_pk_add_f16 v60, v0, v6
	v_mul_f16_e32 v6, 0xbbeb, v45
	v_fma_f16 v39, v58, s6, v6
	v_mul_f16_e32 v53, 0x3abb, v62
	v_pk_mul_f16 v74, v62, s27 op_sel_hi:[0,1]
	v_add_f16_e32 v62, v54, v39
	v_bfi_b32 v7, s15, v7, v51
	v_bfi_b32 v39, s15, v46, v72
	v_pk_add_f16 v7, v7, v39 neg_lo:[0,1] neg_hi:[0,1]
	v_pk_add_f16 v7, v7, v10 op_sel_hi:[1,0]
	v_bfi_b32 v10, s15, v53, v74
	v_bfi_b32 v39, s15, v64, v75
	v_mul_f16_e32 v49, 0xb93d, v61
	v_pk_mul_f16 v76, v61, s29 op_sel_hi:[0,1]
	v_pk_add_f16 v10, v10, v39 neg_lo:[0,1] neg_hi:[0,1]
	v_pk_add_f16 v7, v7, v10
	v_bfi_b32 v10, s15, v49, v76
	v_bfi_b32 v39, s15, v68, v77
	v_pk_add_f16 v10, v10, v39 neg_lo:[0,1] neg_hi:[0,1]
	v_pk_add_f16 v73, v73, v80
	v_pk_mul_f16 v80, v58, s34 op_sel_hi:[0,1]
	v_pk_mul_f16 v81, v45, s36 op_sel_hi:[0,1]
	v_mul_f16_e32 v0, 0xb08e, v58
	v_pk_add_f16 v7, v7, v10
	v_bfi_b32 v10, s15, v52, v78
	v_bfi_b32 v39, s15, v70, v79
	v_pk_add_f16 v10, v10, v39 neg_lo:[0,1] neg_hi:[0,1]
	v_bfi_b32 v0, s15, v0, v80
	v_bfi_b32 v6, s15, v6, v81
	v_pk_add_f16 v7, v7, v10
	v_pk_add_f16 v0, v0, v6 neg_lo:[0,1] neg_hi:[0,1]
	v_pk_fma_f16 v82, v58, s34, v81 op_sel_hi:[0,1,1]
	v_pk_add_f16 v58, v7, v0
	v_add_f16_e32 v0, v9, v50
	v_add_f16_e32 v0, v0, v48
	;; [unrolled: 1-line block ×9, first 2 shown]
	v_sub_f16_e32 v6, v33, v42
	v_add_f16_e32 v10, v66, v0
	v_add_f16_e32 v0, v66, v50
	v_mul_f16_e32 v33, 0xb482, v6
	v_sub_f16_e32 v32, v32, v41
	v_fma_f16 v39, v0, s14, v33
	v_add_f16_e32 v42, v65, v48
	v_mul_f16_e32 v43, 0x3853, v32
	v_sub_f16_e32 v35, v35, v37
	v_pk_mul_f16 v37, v6, s18 op_sel_hi:[0,1]
	v_add_f16_e32 v39, v39, v9
	v_fma_f16 v44, v42, s8, v43
	v_sub_f16_e32 v34, v34, v40
	v_fma_f16 v49, v0, s8, -v37
	v_pk_fma_f16 v37, v0, s16, v37 op_sel_hi:[0,1,1]
	v_pk_mul_f16 v50, v32, s20 op_sel_hi:[0,1]
	v_add_f16_e32 v39, v39, v44
	v_add_f16_e32 v44, v63, v47
	v_mul_f16_e32 v45, 0xba0c, v34
	v_pk_add_f16 v37, v37, v9 op_sel_hi:[1,0]
	v_fma_f16 v51, v42, s9, -v50
	v_pk_fma_f16 v50, v42, s17, v50 op_sel_hi:[0,1,1]
	v_fma_f16 v46, v44, s7, v45
	v_sub_f16_e32 v36, v36, v38
	v_add_f16_e32 v49, v49, v9
	v_pk_add_f16 v37, v37, v50
	v_pk_mul_f16 v50, v34, s22 op_sel_hi:[0,1]
	v_add_f16_e32 v39, v39, v46
	v_add_f16_e32 v46, v59, v56
	v_mul_f16_e32 v47, 0x3b47, v36
	v_add_f16_e32 v49, v49, v51
	v_fma_f16 v51, v44, s6, -v50
	v_pk_fma_f16 v50, v44, s19, v50 op_sel_hi:[0,1,1]
	v_fma_f16 v48, v46, s9, v47
	v_pk_add_f16 v37, v37, v50
	v_pk_mul_f16 v50, v36, s24 op_sel_hi:[0,1]
	v_add_f16_e32 v39, v39, v48
	v_add_f16_e32 v48, v57, v55
	;; [unrolled: 1-line block ×3, first 2 shown]
	v_fma_f16 v51, v46, s7, -v50
	v_pk_fma_f16 v50, v46, s21, v50 op_sel_hi:[0,1,1]
	v_add_f16_e32 v49, v49, v51
	v_pk_add_f16 v37, v37, v50
	v_pk_mul_f16 v50, v48, s23 op_sel_hi:[0,1]
	v_pk_mul_f16 v51, v35, s26 op_sel_hi:[0,1]
	v_sub_f16_e32 v50, v50, v51
	v_pk_fma_f16 v52, v48, s23, v51 op_sel_hi:[0,1,1]
	v_add_f16_e32 v63, v49, v50
	v_pk_mul_f16 v49, v6, s28 op_sel_hi:[0,1]
	v_pk_mul_f16 v6, v6, s37 op_sel_hi:[0,1]
	v_mul_f16_e32 v7, 0xbbad, v0
	v_pk_add_f16 v64, v37, v52
	v_pk_mul_f16 v37, v0, s25 op_sel_hi:[0,1]
	v_pk_fma_f16 v50, v0, s25, v49 op_sel_hi:[0,1,1]
	v_pk_fma_f16 v0, v0, s38, v6 op_sel_hi:[0,1,1] neg_lo:[0,0,1] neg_hi:[0,0,1]
	v_pk_mul_f16 v6, v32, s39 op_sel_hi:[0,1]
	v_pk_add_f16 v0, v0, v9 op_sel_hi:[1,0]
	v_pk_fma_f16 v6, v42, s40, v6 op_sel_hi:[0,1,1] neg_lo:[0,0,1] neg_hi:[0,0,1]
	v_pk_add_f16 v0, v0, v6
	v_pk_mul_f16 v6, v34, s41 op_sel_hi:[0,1]
	v_pk_fma_f16 v6, v44, s42, v6 op_sel_hi:[0,1,1] neg_lo:[0,0,1] neg_hi:[0,0,1]
	v_pk_add_f16 v0, v0, v6
	v_pk_mul_f16 v6, v36, s43 op_sel_hi:[0,1]
	;; [unrolled: 3-line block ×3, first 2 shown]
	v_pk_fma_f16 v6, v48, s46, v6 op_sel_hi:[0,1,1] neg_lo:[0,0,1] neg_hi:[0,0,1]
	v_pk_add_f16 v66, v0, v6
	v_mul_f16_e32 v6, 0xbbeb, v35
	v_pk_mul_f16 v52, v32, s30 op_sel_hi:[0,1]
	v_fma_f16 v32, v48, s6, v6
	v_add_f16_e32 v68, v39, v32
	v_bfi_b32 v7, s15, v7, v37
	v_bfi_b32 v32, s15, v33, v49
	v_mul_f16_e32 v41, 0x3abb, v42
	v_pk_mul_f16 v51, v42, s27 op_sel_hi:[0,1]
	v_pk_add_f16 v7, v7, v32 neg_lo:[0,1] neg_hi:[0,1]
	v_pk_add_f16 v50, v50, v9 op_sel_hi:[1,0]
	v_pk_fma_f16 v53, v42, s27, v52 op_sel_hi:[0,1,1]
	v_pk_add_f16 v7, v7, v9 op_sel_hi:[1,0]
	v_bfi_b32 v9, s15, v41, v51
	v_bfi_b32 v32, s15, v43, v52
	v_mul_f16_e32 v40, 0xb93d, v44
	v_pk_add_f16 v50, v50, v53
	v_pk_mul_f16 v53, v44, s29 op_sel_hi:[0,1]
	v_pk_mul_f16 v54, v34, s33 op_sel_hi:[0,1]
	v_pk_add_f16 v9, v9, v32 neg_lo:[0,1] neg_hi:[0,1]
	v_pk_fma_f16 v55, v44, s29, v54 op_sel_hi:[0,1,1]
	v_pk_mul_f16 v56, v36, s35 op_sel_hi:[0,1]
	v_pk_add_f16 v7, v7, v9
	v_bfi_b32 v9, s15, v40, v53
	v_bfi_b32 v32, s15, v45, v54
	v_mul_f16_e32 v38, 0x36a6, v46
	v_pk_add_f16 v50, v50, v55
	v_pk_mul_f16 v55, v46, s31 op_sel_hi:[0,1]
	v_pk_fma_f16 v57, v46, s31, v56 op_sel_hi:[0,1,1]
	v_pk_add_f16 v9, v9, v32 neg_lo:[0,1] neg_hi:[0,1]
	v_pk_add_f16 v50, v50, v57
	v_pk_mul_f16 v57, v48, s34 op_sel_hi:[0,1]
	v_pk_mul_f16 v59, v35, s36 op_sel_hi:[0,1]
	v_mul_f16_e32 v0, 0xb08e, v48
	v_pk_add_f16 v7, v7, v9
	v_bfi_b32 v9, s15, v38, v55
	v_bfi_b32 v32, s15, v47, v56
	v_pk_add_f16 v9, v9, v32 neg_lo:[0,1] neg_hi:[0,1]
	v_bfi_b32 v0, s15, v0, v57
	v_bfi_b32 v6, s15, v6, v59
	v_pk_add_f16 v7, v7, v9
	v_pk_add_f16 v0, v0, v6 neg_lo:[0,1] neg_hi:[0,1]
	s_movk_i32 s4, 0xffec
	v_pk_fma_f16 v65, v48, s34, v59 op_sel_hi:[0,1,1]
	v_pk_add_f16 v59, v7, v0
	v_mad_i32_i24 v0, v11, s4, v8
	v_pk_add_f16 v65, v50, v65
	s_waitcnt lgkmcnt(0)
	; wave barrier
	s_waitcnt lgkmcnt(0)
	ds_read_u16 v47, v0 offset:660
	ds_read_u16 v43, v0 offset:770
	ds_read_u16 v34, v0
	ds_read_u16 v33, v0 offset:110
	ds_read_u16 v32, v0 offset:220
	;; [unrolled: 1-line block ×22, first 2 shown]
	v_pk_add_f16 v61, v73, v82
	v_alignbit_b32 v57, v62, v61, 16
	v_alignbit_b32 v56, v61, v71, 16
	v_pack_b32_f16 v55, v67, v71
	v_add_u32_e32 v9, 0x6e, v11
	s_waitcnt lgkmcnt(0)
	; wave barrier
	s_waitcnt lgkmcnt(0)
	ds_write_b128 v8, v[55:58]
	ds_write_b32 v8, v60 offset:16
	ds_write_b16 v8, v69 offset:20
	v_alignbit_b32 v58, v68, v65, 16
	v_alignbit_b32 v57, v65, v64, 16
	v_pack_b32_f16 v56, v10, v64
	ds_write_b128 v8, v[56:59] offset:1210
	ds_write_b32 v8, v66 offset:1226
	ds_write_b16 v8, v63 offset:1230
	s_and_saveexec_b64 s[4:5], s[0:1]
	s_cbranch_execz .LBB0_19
; %bb.18:
	v_add_f16_e32 v8, v5, v29
	v_add_f16_e32 v8, v8, v27
	;; [unrolled: 1-line block ×8, first 2 shown]
	v_sub_f16_e32 v17, v17, v28
	v_add_f16_e32 v8, v30, v8
	v_add_f16_e32 v10, v29, v31
	s_mov_b32 s0, 0xbbad
	v_mul_f16_e32 v29, 0xb482, v17
	v_sub_f16_e32 v16, v16, v23
	v_add_f16_e32 v8, v31, v8
	v_fma_f16 v31, v10, s0, v29
	v_add_f16_e32 v27, v27, v30
	s_movk_i32 s0, 0x3abb
	v_mul_f16_e32 v30, 0x3853, v16
	v_sub_f16_e32 v15, v15, v20
	v_add_f16_e32 v31, v5, v31
	v_fma_f16 v55, v27, s0, v30
	v_add_f16_e32 v25, v25, v26
	s_mov_b32 s1, 0xb93d
	v_mul_f16_e32 v26, 0xba0c, v15
	v_sub_f16_e32 v13, v13, v18
	s_mov_b32 s8, 0xbb47b853
	v_add_f16_e32 v31, v31, v55
	v_fma_f16 v55, v25, s1, v26
	v_add_f16_e32 v22, v22, v24
	s_movk_i32 s6, 0x36a6
	v_mul_f16_e32 v24, 0x3b47, v13
	v_sub_f16_e32 v12, v12, v14
	s_mov_b32 s7, 0x36a63abb
	v_pk_mul_f16 v14, v17, s8 op_sel_hi:[0,1]
	v_add_f16_e32 v31, v31, v55
	v_fma_f16 v55, v22, s6, v24
	v_add_f16_e32 v19, v19, v21
	v_fma_f16 v21, v10, s0, -v14
	v_pk_fma_f16 v14, v10, s7, v14 op_sel_hi:[0,1,1]
	s_mov_b32 s7, 0xba0cbb47
	v_add_f16_e32 v31, v31, v55
	s_mov_b32 s0, 0xb93d36a6
	v_pk_mul_f16 v55, v16, s7 op_sel_hi:[0,1]
	v_pk_add_f16 v14, v5, v14 op_sel_hi:[0,1]
	v_fma_f16 v56, v27, s6, -v55
	v_pk_fma_f16 v55, v27, s0, v55 op_sel_hi:[0,1,1]
	s_mov_b32 s6, 0x3482bbeb
	v_add_f16_e32 v21, v5, v21
	v_pk_add_f16 v14, v14, v55
	s_mov_b32 s0, 0xbbadb08e
	v_pk_mul_f16 v55, v15, s6 op_sel_hi:[0,1]
	s_mov_b32 s6, 0xb08e
	v_add_f16_e32 v21, v21, v56
	v_fma_f16 v56, v25, s6, -v55
	v_pk_fma_f16 v55, v25, s0, v55 op_sel_hi:[0,1,1]
	s_mov_b32 s7, 0x3bebba0c
	v_pk_add_f16 v14, v14, v55
	s_mov_b32 s0, 0xb08eb93d
	v_pk_mul_f16 v55, v13, s7 op_sel_hi:[0,1]
	v_add_f16_e32 v21, v21, v56
	v_fma_f16 v56, v22, s1, -v55
	v_pk_fma_f16 v55, v22, s0, v55 op_sel_hi:[0,1,1]
	s_mov_b32 s0, 0x3abbbbad
	s_mov_b32 s1, 0x3853b482
	v_add_f16_e32 v21, v21, v56
	v_pk_add_f16 v14, v14, v55
	v_pk_mul_f16 v55, v19, s0 op_sel_hi:[0,1]
	v_pk_mul_f16 v56, v12, s1 op_sel_hi:[0,1]
	s_mov_b32 s1, 0xba0cbbeb
	v_pk_fma_f16 v57, v19, s0, v56 op_sel_hi:[0,1,1]
	v_sub_f16_e32 v55, v55, v56
	s_mov_b32 s0, 0xb93db08e
	v_pk_mul_f16 v56, v17, s1 op_sel_hi:[0,1]
	s_mov_b32 s1, 0x3beb3482
	v_add_f16_e32 v21, v21, v55
	v_pk_add_f16 v55, v14, v57
	v_pk_mul_f16 v14, v10, s0 op_sel_hi:[0,1]
	v_pk_fma_f16 v57, v10, s0, v56 op_sel_hi:[0,1,1]
	s_mov_b32 s0, 0xb08ebbad
	v_pk_mul_f16 v59, v16, s1 op_sel_hi:[0,1]
	s_mov_b32 s1, 0xb8533b47
	v_pk_add_f16 v57, v5, v57 op_sel_hi:[0,1]
	v_pk_mul_f16 v58, v27, s0 op_sel_hi:[0,1]
	v_pk_fma_f16 v60, v27, s0, v59 op_sel_hi:[0,1,1]
	s_mov_b32 s0, 0x3abb36a6
	v_pk_mul_f16 v61, v15, s1 op_sel_hi:[0,1]
	s_mov_b32 s1, 0xb482b853
	v_pk_add_f16 v57, v57, v60
	v_pk_mul_f16 v60, v25, s0 op_sel_hi:[0,1]
	v_pk_fma_f16 v62, v25, s0, v61 op_sel_hi:[0,1,1]
	s_mov_b32 s0, 0xbbad3abb
	v_pk_mul_f16 v63, v13, s1 op_sel_hi:[0,1]
	s_mov_b32 s1, 0x3b47ba0c
	v_pk_add_f16 v57, v57, v62
	;; [unrolled: 6-line block ×3, first 2 shown]
	v_pk_mul_f16 v64, v19, s0 op_sel_hi:[0,1]
	v_pk_fma_f16 v66, v19, s0, v65 op_sel_hi:[0,1,1]
	s_mov_b32 s0, 0x36a6b08e
	v_pk_mul_f16 v17, v17, s1 op_sel_hi:[0,1]
	s_mov_b32 s1, 0x3a0cb482
	v_mul_f16_e32 v28, 0xbbad, v10
	v_pk_fma_f16 v10, v10, s0, v17 op_sel_hi:[0,1,1]
	s_mov_b32 s0, 0xb93dbbad
	v_pk_mul_f16 v16, v16, s1 op_sel_hi:[0,1]
	s_mov_b32 s1, 0xb482bb47
	v_pk_add_f16 v10, v5, v10 op_sel_hi:[0,1]
	v_pk_fma_f16 v16, v27, s0, v16 op_sel_hi:[0,1,1]
	s_mov_b32 s0, 0xbbad36a6
	v_pk_mul_f16 v15, v15, s1 op_sel_hi:[0,1]
	s_mov_b32 s1, 0xbbeb3853
	v_pk_add_f16 v10, v10, v16
	v_pk_fma_f16 v15, v25, s0, v15 op_sel_hi:[0,1,1]
	s_mov_b32 s0, 0xb08e3abb
	v_pk_mul_f16 v13, v13, s1 op_sel_hi:[0,1]
	v_pk_add_f16 v10, v10, v15
	v_pk_fma_f16 v13, v22, s0, v13 op_sel_hi:[0,1,1]
	s_mov_b32 s1, 0xb8533a0c
	v_pk_add_f16 v10, v10, v13
	s_mov_b32 s0, 0x3abbb93d
	v_pk_mul_f16 v13, v12, s1 op_sel_hi:[0,1]
	v_pk_fma_f16 v13, v19, s0, v13 op_sel_hi:[0,1,1]
	s_mov_b32 s0, 0xffff
	v_bfi_b32 v14, s0, v28, v14
	v_bfi_b32 v17, s0, v29, v56
	v_mul_f16_e32 v23, 0x3abb, v27
	v_pk_add_f16 v14, v14, v17 neg_lo:[0,1] neg_hi:[0,1]
	v_pk_add_f16 v5, v5, v14 op_sel_hi:[0,1]
	v_bfi_b32 v14, s0, v23, v58
	v_bfi_b32 v17, s0, v30, v59
	v_mul_f16_e32 v20, 0xb93d, v25
	v_pk_add_f16 v14, v14, v17 neg_lo:[0,1] neg_hi:[0,1]
	v_pk_add_f16 v5, v5, v14
	v_bfi_b32 v14, s0, v20, v60
	v_bfi_b32 v17, s0, v26, v61
	v_mul_f16_e32 v18, 0x36a6, v22
	v_pk_add_f16 v14, v14, v17 neg_lo:[0,1] neg_hi:[0,1]
	v_pk_add_f16 v5, v5, v14
	v_bfi_b32 v14, s0, v18, v62
	v_bfi_b32 v17, s0, v24, v63
	v_mul_f16_e32 v15, 0xb08e, v19
	v_mul_f16_e32 v12, 0xbbeb, v12
	v_pk_add_f16 v14, v14, v17 neg_lo:[0,1] neg_hi:[0,1]
	v_fma_f16 v16, v19, s6, v12
	v_pk_add_f16 v5, v5, v14
	v_bfi_b32 v14, s0, v15, v64
	v_bfi_b32 v12, s0, v12, v65
	v_pk_add_f16 v10, v10, v13
	v_pk_add_f16 v13, v57, v66
	v_add_f16_e32 v16, v31, v16
	v_pk_add_f16 v12, v14, v12 neg_lo:[0,1] neg_hi:[0,1]
	v_pk_add_f16 v15, v5, v12
	v_mad_u32_u24 v5, v9, 22, 0
	v_alignbit_b32 v14, v16, v13, 16
	v_alignbit_b32 v13, v13, v55, 16
	v_pack_b32_f16 v12, v8, v55
	ds_write_b128 v5, v[12:15]
	ds_write_b32 v5, v10 offset:16
	ds_write_b16 v5, v21 offset:20
.LBB0_19:
	s_or_b64 exec, exec, s[4:5]
	s_movk_i32 s0, 0x75
	v_mul_lo_u16_sdwa v5, v11, s0 dst_sel:DWORD dst_unused:UNUSED_PAD src0_sel:BYTE_0 src1_sel:DWORD
	v_sub_u16_sdwa v8, v11, v5 dst_sel:DWORD dst_unused:UNUSED_PAD src0_sel:DWORD src1_sel:BYTE_1
	v_lshrrev_b16_e32 v8, 1, v8
	v_and_b32_e32 v8, 0x7f, v8
	v_add_u16_sdwa v5, v8, v5 dst_sel:DWORD dst_unused:UNUSED_PAD src0_sel:DWORD src1_sel:BYTE_1
	v_lshrrev_b16_e32 v5, 3, v5
	v_mul_lo_u16_e32 v8, 11, v5
	v_sub_u16_e32 v8, v11, v8
	v_mov_b32_e32 v26, 4
	v_lshlrev_b32_sdwa v10, v26, v8 dst_sel:DWORD dst_unused:UNUSED_PAD src0_sel:DWORD src1_sel:BYTE_0
	s_waitcnt lgkmcnt(0)
	; wave barrier
	s_waitcnt lgkmcnt(0)
	global_load_dwordx4 v[14:17], v10, s[12:13]
	v_add_u32_e32 v10, 55, v11
	v_mul_lo_u16_sdwa v12, v10, s0 dst_sel:DWORD dst_unused:UNUSED_PAD src0_sel:BYTE_0 src1_sel:DWORD
	v_sub_u16_sdwa v13, v10, v12 dst_sel:DWORD dst_unused:UNUSED_PAD src0_sel:DWORD src1_sel:BYTE_1
	v_lshrrev_b16_e32 v13, 1, v13
	v_and_b32_e32 v13, 0x7f, v13
	v_add_u16_sdwa v12, v13, v12 dst_sel:DWORD dst_unused:UNUSED_PAD src0_sel:DWORD src1_sel:BYTE_1
	v_lshrrev_b16_e32 v30, 3, v12
	v_mul_lo_u16_e32 v12, 11, v30
	v_sub_u16_e32 v31, v10, v12
	v_lshlrev_b32_sdwa v12, v26, v31 dst_sel:DWORD dst_unused:UNUSED_PAD src0_sel:DWORD src1_sel:BYTE_0
	global_load_dwordx4 v[18:21], v12, s[12:13]
	v_mul_lo_u16_sdwa v12, v9, s0 dst_sel:DWORD dst_unused:UNUSED_PAD src0_sel:BYTE_0 src1_sel:DWORD
	v_sub_u16_sdwa v13, v9, v12 dst_sel:DWORD dst_unused:UNUSED_PAD src0_sel:DWORD src1_sel:BYTE_1
	v_lshrrev_b16_e32 v13, 1, v13
	v_and_b32_e32 v13, 0x7f, v13
	v_add_u16_sdwa v12, v13, v12 dst_sel:DWORD dst_unused:UNUSED_PAD src0_sel:DWORD src1_sel:BYTE_1
	v_lshrrev_b16_e32 v59, 3, v12
	v_mul_lo_u16_e32 v12, 11, v59
	v_sub_u16_e32 v60, v9, v12
	v_lshlrev_b32_sdwa v12, v26, v60 dst_sel:DWORD dst_unused:UNUSED_PAD src0_sel:DWORD src1_sel:BYTE_0
	global_load_dwordx4 v[22:25], v12, s[12:13]
	v_add_u32_e32 v12, 0xa5, v11
	v_mul_lo_u16_sdwa v27, v12, s0 dst_sel:DWORD dst_unused:UNUSED_PAD src0_sel:BYTE_0 src1_sel:DWORD
	v_sub_u16_sdwa v28, v12, v27 dst_sel:DWORD dst_unused:UNUSED_PAD src0_sel:DWORD src1_sel:BYTE_1
	v_lshrrev_b16_e32 v28, 1, v28
	v_and_b32_e32 v28, 0x7f, v28
	v_add_u16_sdwa v27, v28, v27 dst_sel:DWORD dst_unused:UNUSED_PAD src0_sel:DWORD src1_sel:BYTE_1
	v_lshrrev_b16_e32 v61, 3, v27
	v_mul_lo_u16_e32 v27, 11, v61
	v_sub_u16_e32 v62, v12, v27
	v_lshlrev_b32_sdwa v26, v26, v62 dst_sel:DWORD dst_unused:UNUSED_PAD src0_sel:DWORD src1_sel:BYTE_0
	global_load_dwordx4 v[26:29], v26, s[12:13]
	v_add_u32_e32 v13, 0xdc, v11
	s_mov_b32 s0, 0xba2f
	v_mul_u32_u24_sdwa v55, v13, s0 dst_sel:DWORD dst_unused:UNUSED_PAD src0_sel:WORD_0 src1_sel:DWORD
	v_lshrrev_b32_e32 v73, 19, v55
	v_mul_lo_u16_e32 v55, 11, v73
	v_sub_u16_e32 v74, v13, v55
	v_lshlrev_b32_e32 v55, 4, v74
	ds_read_u16 v63, v0 offset:660
	ds_read_u16 v64, v0 offset:770
	ds_read_u16 v65, v0
	ds_read_u16 v66, v0 offset:110
	ds_read_u16 v67, v0 offset:220
	;; [unrolled: 1-line block ×7, first 2 shown]
	global_load_dwordx4 v[55:58], v55, s[12:13]
	ds_read_u16 v75, v0 offset:1760
	ds_read_u16 v76, v0 offset:1870
	;; [unrolled: 1-line block ×15, first 2 shown]
	s_movk_i32 s4, 0x3b9c
	s_mov_b32 s7, 0xbb9c
	s_movk_i32 s5, 0x38b4
	s_mov_b32 s8, 0xb8b4
	s_movk_i32 s6, 0x34f2
	v_mul_u32_u24_e32 v5, 0x6e, v5
	s_waitcnt lgkmcnt(0)
	; wave barrier
	s_waitcnt vmcnt(4) lgkmcnt(0)
	v_mul_f16_sdwa v90, v81, v14 dst_sel:DWORD dst_unused:UNUSED_PAD src0_sel:DWORD src1_sel:WORD_1
	v_mul_f16_sdwa v91, v52, v14 dst_sel:DWORD dst_unused:UNUSED_PAD src0_sel:DWORD src1_sel:WORD_1
	;; [unrolled: 1-line block ×3, first 2 shown]
	v_fma_f16 v52, v52, v14, -v90
	v_fma_f16 v14, v81, v14, v91
	v_fma_f16 v81, v53, v17, -v96
	v_mul_f16_sdwa v53, v53, v17 dst_sel:DWORD dst_unused:UNUSED_PAD src0_sel:DWORD src1_sel:WORD_1
	v_fma_f16 v17, v87, v17, v53
	v_mul_f16_sdwa v92, v85, v15 dst_sel:DWORD dst_unused:UNUSED_PAD src0_sel:DWORD src1_sel:WORD_1
	v_mul_f16_sdwa v94, v83, v16 dst_sel:DWORD dst_unused:UNUSED_PAD src0_sel:DWORD src1_sel:WORD_1
	;; [unrolled: 1-line block ×3, first 2 shown]
	s_waitcnt vmcnt(3)
	v_mul_f16_sdwa v53, v63, v18 dst_sel:DWORD dst_unused:UNUSED_PAD src0_sel:DWORD src1_sel:WORD_1
	v_fma_f16 v53, v47, v18, -v53
	v_mul_f16_sdwa v47, v47, v18 dst_sel:DWORD dst_unused:UNUSED_PAD src0_sel:DWORD src1_sel:WORD_1
	v_fma_f16 v18, v63, v18, v47
	v_mul_f16_sdwa v47, v70, v19 dst_sel:DWORD dst_unused:UNUSED_PAD src0_sel:DWORD src1_sel:WORD_1
	v_fma_f16 v47, v50, v19, -v47
	v_mul_f16_sdwa v50, v50, v19 dst_sel:DWORD dst_unused:UNUSED_PAD src0_sel:DWORD src1_sel:WORD_1
	v_fma_f16 v19, v70, v19, v50
	v_mul_f16_sdwa v50, v75, v20 dst_sel:DWORD dst_unused:UNUSED_PAD src0_sel:DWORD src1_sel:WORD_1
	v_fma_f16 v50, v49, v20, -v50
	v_mul_f16_sdwa v49, v49, v20 dst_sel:DWORD dst_unused:UNUSED_PAD src0_sel:DWORD src1_sel:WORD_1
	v_fma_f16 v20, v75, v20, v49
	v_mul_f16_sdwa v49, v78, v21 dst_sel:DWORD dst_unused:UNUSED_PAD src0_sel:DWORD src1_sel:WORD_1
	v_fma_f16 v49, v48, v21, -v49
	v_mul_f16_sdwa v48, v48, v21 dst_sel:DWORD dst_unused:UNUSED_PAD src0_sel:DWORD src1_sel:WORD_1
	v_fma_f16 v21, v78, v21, v48
	s_waitcnt vmcnt(2)
	v_mul_f16_sdwa v48, v64, v22 dst_sel:DWORD dst_unused:UNUSED_PAD src0_sel:DWORD src1_sel:WORD_1
	v_fma_f16 v48, v43, v22, -v48
	v_mul_f16_sdwa v43, v43, v22 dst_sel:DWORD dst_unused:UNUSED_PAD src0_sel:DWORD src1_sel:WORD_1
	v_fma_f16 v22, v64, v22, v43
	v_mul_f16_sdwa v43, v71, v23 dst_sel:DWORD dst_unused:UNUSED_PAD src0_sel:DWORD src1_sel:WORD_1
	v_fma_f16 v43, v46, v23, -v43
	v_mul_f16_sdwa v46, v46, v23 dst_sel:DWORD dst_unused:UNUSED_PAD src0_sel:DWORD src1_sel:WORD_1
	v_fma_f16 v23, v71, v23, v46
	v_mul_f16_sdwa v46, v76, v24 dst_sel:DWORD dst_unused:UNUSED_PAD src0_sel:DWORD src1_sel:WORD_1
	v_fma_f16 v46, v45, v24, -v46
	v_mul_f16_sdwa v45, v45, v24 dst_sel:DWORD dst_unused:UNUSED_PAD src0_sel:DWORD src1_sel:WORD_1
	v_fma_f16 v24, v76, v24, v45
	v_mul_f16_sdwa v45, v79, v25 dst_sel:DWORD dst_unused:UNUSED_PAD src0_sel:DWORD src1_sel:WORD_1
	v_fma_f16 v45, v44, v25, -v45
	v_mul_f16_sdwa v44, v44, v25 dst_sel:DWORD dst_unused:UNUSED_PAD src0_sel:DWORD src1_sel:WORD_1
	v_fma_f16 v25, v79, v25, v44
	;; [unrolled: 17-line block ×3, first 2 shown]
	s_waitcnt vmcnt(0)
	v_mul_f16_sdwa v38, v86, v55 dst_sel:DWORD dst_unused:UNUSED_PAD src0_sel:DWORD src1_sel:WORD_1
	v_fma_f16 v38, v42, v55, -v38
	v_mul_f16_sdwa v42, v42, v55 dst_sel:DWORD dst_unused:UNUSED_PAD src0_sel:DWORD src1_sel:WORD_1
	v_mul_f16_sdwa v95, v51, v16 dst_sel:DWORD dst_unused:UNUSED_PAD src0_sel:DWORD src1_sel:WORD_1
	v_fma_f16 v54, v54, v15, -v92
	v_fma_f16 v51, v51, v16, -v94
	v_fma_f16 v42, v86, v55, v42
	v_mul_f16_sdwa v55, v84, v56 dst_sel:DWORD dst_unused:UNUSED_PAD src0_sel:DWORD src1_sel:WORD_1
	v_fma_f16 v55, v36, v56, -v55
	v_mul_f16_sdwa v36, v36, v56 dst_sel:DWORD dst_unused:UNUSED_PAD src0_sel:DWORD src1_sel:WORD_1
	v_add_f16_e32 v63, v54, v51
	v_fma_f16 v15, v85, v15, v93
	v_fma_f16 v16, v83, v16, v95
	;; [unrolled: 1-line block ×3, first 2 shown]
	v_mul_f16_sdwa v56, v88, v57 dst_sel:DWORD dst_unused:UNUSED_PAD src0_sel:DWORD src1_sel:WORD_1
	v_fma_f16 v63, v63, -0.5, v34
	v_sub_f16_e32 v64, v14, v17
	v_fma_f16 v56, v37, v57, -v56
	v_mul_f16_sdwa v37, v37, v57 dst_sel:DWORD dst_unused:UNUSED_PAD src0_sel:DWORD src1_sel:WORD_1
	v_fma_f16 v69, v64, s4, v63
	v_sub_f16_e32 v70, v15, v16
	v_sub_f16_e32 v71, v52, v54
	;; [unrolled: 1-line block ×3, first 2 shown]
	v_fma_f16 v63, v64, s7, v63
	v_fma_f16 v37, v88, v57, v37
	v_mul_f16_sdwa v57, v89, v58 dst_sel:DWORD dst_unused:UNUSED_PAD src0_sel:DWORD src1_sel:WORD_1
	v_fma_f16 v69, v70, s5, v69
	v_add_f16_e32 v71, v71, v72
	v_fma_f16 v63, v70, s8, v63
	v_fma_f16 v57, v35, v58, -v57
	v_mul_f16_sdwa v35, v35, v58 dst_sel:DWORD dst_unused:UNUSED_PAD src0_sel:DWORD src1_sel:WORD_1
	v_fma_f16 v69, v71, s6, v69
	v_fma_f16 v63, v71, s6, v63
	v_add_f16_e32 v71, v52, v81
	v_fma_f16 v35, v89, v58, v35
	v_add_f16_e32 v58, v34, v52
	v_fma_f16 v34, v71, -0.5, v34
	v_fma_f16 v71, v70, s7, v34
	v_sub_f16_e32 v72, v54, v52
	v_sub_f16_e32 v75, v51, v81
	v_fma_f16 v34, v70, s4, v34
	v_add_f16_e32 v70, v15, v16
	v_add_f16_e32 v58, v58, v54
	v_fma_f16 v71, v64, s5, v71
	v_add_f16_e32 v72, v72, v75
	v_fma_f16 v34, v64, s8, v34
	v_fma_f16 v70, v70, -0.5, v65
	v_sub_f16_e32 v52, v52, v81
	v_add_f16_e32 v58, v58, v51
	v_fma_f16 v71, v72, s6, v71
	v_fma_f16 v34, v72, s6, v34
	;; [unrolled: 1-line block ×3, first 2 shown]
	v_sub_f16_e32 v51, v54, v51
	v_fma_f16 v54, v51, s8, v72
	v_sub_f16_e32 v72, v14, v15
	v_sub_f16_e32 v75, v17, v16
	v_fma_f16 v70, v52, s4, v70
	v_add_f16_e32 v64, v65, v14
	v_add_f16_e32 v72, v72, v75
	v_fma_f16 v70, v51, s5, v70
	v_add_f16_e32 v64, v64, v15
	v_fma_f16 v54, v72, s6, v54
	v_fma_f16 v70, v72, s6, v70
	v_add_f16_e32 v72, v14, v17
	v_add_f16_e32 v64, v64, v16
	v_fma_f16 v65, v72, -0.5, v65
	v_add_f16_e32 v64, v64, v17
	v_fma_f16 v72, v51, s4, v65
	v_sub_f16_e32 v14, v15, v14
	v_sub_f16_e32 v15, v16, v17
	v_add_f16_e32 v17, v47, v50
	v_fma_f16 v72, v52, s8, v72
	v_add_f16_e32 v14, v14, v15
	v_fma_f16 v16, v51, s7, v65
	v_fma_f16 v17, v17, -0.5, v33
	v_sub_f16_e32 v51, v18, v21
	v_fma_f16 v15, v14, s6, v72
	v_fma_f16 v16, v52, s5, v16
	v_fma_f16 v52, v51, s4, v17
	v_sub_f16_e32 v65, v19, v20
	v_sub_f16_e32 v72, v53, v47
	v_sub_f16_e32 v75, v49, v50
	v_fma_f16 v17, v51, s7, v17
	v_fma_f16 v52, v65, s5, v52
	v_add_f16_e32 v72, v72, v75
	v_fma_f16 v17, v65, s8, v17
	v_fma_f16 v16, v14, s6, v16
	v_add_f16_e32 v14, v33, v53
	v_fma_f16 v52, v72, s6, v52
	v_fma_f16 v17, v72, s6, v17
	v_add_f16_e32 v72, v53, v49
	v_add_f16_e32 v14, v14, v47
	v_fma_f16 v33, v72, -0.5, v33
	v_add_f16_e32 v14, v14, v50
	v_fma_f16 v72, v65, s7, v33
	v_fma_f16 v33, v65, s4, v33
	v_add_f16_e32 v65, v19, v20
	v_add_f16_e32 v14, v14, v49
	v_sub_f16_e32 v75, v47, v53
	v_sub_f16_e32 v76, v50, v49
	v_fma_f16 v65, v65, -0.5, v66
	v_sub_f16_e32 v49, v53, v49
	v_fma_f16 v72, v51, s5, v72
	v_add_f16_e32 v75, v75, v76
	v_fma_f16 v33, v51, s8, v33
	v_fma_f16 v53, v49, s7, v65
	v_sub_f16_e32 v47, v47, v50
	v_fma_f16 v72, v75, s6, v72
	v_fma_f16 v33, v75, s6, v33
	v_fma_f16 v50, v47, s8, v53
	v_sub_f16_e32 v53, v18, v19
	v_sub_f16_e32 v75, v21, v20
	v_fma_f16 v65, v49, s4, v65
	v_add_f16_e32 v51, v66, v18
	v_add_f16_e32 v53, v53, v75
	v_fma_f16 v65, v47, s5, v65
	v_add_f16_e32 v51, v51, v19
	v_fma_f16 v50, v53, s6, v50
	v_fma_f16 v53, v53, s6, v65
	v_add_f16_e32 v65, v18, v21
	v_add_f16_e32 v51, v51, v20
	v_fma_f16 v65, v65, -0.5, v66
	v_add_f16_e32 v51, v51, v21
	v_fma_f16 v66, v47, s4, v65
	v_sub_f16_e32 v18, v19, v18
	v_sub_f16_e32 v19, v20, v21
	v_add_f16_e32 v21, v43, v46
	v_fma_f16 v66, v49, s8, v66
	v_add_f16_e32 v18, v18, v19
	v_fma_f16 v20, v47, s7, v65
	v_fma_f16 v21, v21, -0.5, v32
	v_sub_f16_e32 v47, v22, v25
	v_fma_f16 v19, v18, s6, v66
	v_fma_f16 v20, v49, s5, v20
	v_fma_f16 v49, v47, s4, v21
	v_sub_f16_e32 v65, v23, v24
	v_sub_f16_e32 v66, v48, v43
	v_sub_f16_e32 v75, v45, v46
	v_fma_f16 v21, v47, s7, v21
	v_fma_f16 v49, v65, s5, v49
	v_add_f16_e32 v66, v66, v75
	v_fma_f16 v21, v65, s8, v21
	v_fma_f16 v18, v18, s6, v20
	v_add_f16_e32 v20, v32, v48
	v_fma_f16 v49, v66, s6, v49
	v_fma_f16 v21, v66, s6, v21
	v_add_f16_e32 v66, v48, v45
	v_add_f16_e32 v20, v20, v43
	v_fma_f16 v32, v66, -0.5, v32
	v_add_f16_e32 v20, v20, v46
	v_fma_f16 v66, v65, s7, v32
	v_fma_f16 v32, v65, s4, v32
	v_add_f16_e32 v65, v23, v24
	v_add_f16_e32 v20, v20, v45
	v_sub_f16_e32 v75, v43, v48
	v_sub_f16_e32 v76, v46, v45
	v_fma_f16 v65, v65, -0.5, v67
	v_sub_f16_e32 v45, v48, v45
	v_fma_f16 v66, v47, s5, v66
	v_add_f16_e32 v75, v75, v76
	v_fma_f16 v32, v47, s8, v32
	v_fma_f16 v48, v45, s7, v65
	v_sub_f16_e32 v43, v43, v46
	v_fma_f16 v66, v75, s6, v66
	v_fma_f16 v32, v75, s6, v32
	;; [unrolled: 56-line block ×3, first 2 shown]
	v_fma_f16 v41, v40, s8, v44
	v_sub_f16_e32 v44, v26, v27
	v_sub_f16_e32 v75, v29, v28
	v_fma_f16 v65, v39, s4, v65
	v_add_f16_e32 v43, v68, v26
	v_add_f16_e32 v44, v44, v75
	v_fma_f16 v65, v40, s5, v65
	v_add_f16_e32 v43, v43, v27
	v_fma_f16 v41, v44, s6, v41
	v_fma_f16 v44, v44, s6, v65
	v_add_f16_e32 v65, v26, v29
	v_add_f16_e32 v43, v43, v28
	v_fma_f16 v65, v65, -0.5, v68
	v_add_f16_e32 v43, v43, v29
	v_fma_f16 v68, v40, s4, v65
	v_sub_f16_e32 v26, v27, v26
	v_sub_f16_e32 v27, v28, v29
	v_fma_f16 v28, v40, s7, v65
	v_add_f16_e32 v29, v55, v56
	v_fma_f16 v68, v39, s8, v68
	v_add_f16_e32 v26, v26, v27
	v_fma_f16 v28, v39, s5, v28
	v_fma_f16 v29, v29, -0.5, v6
	v_sub_f16_e32 v39, v42, v35
	v_fma_f16 v27, v26, s6, v68
	v_fma_f16 v40, v39, s4, v29
	v_sub_f16_e32 v65, v36, v37
	v_sub_f16_e32 v68, v38, v55
	;; [unrolled: 1-line block ×3, first 2 shown]
	v_fma_f16 v29, v39, s7, v29
	v_fma_f16 v40, v65, s5, v40
	v_add_f16_e32 v68, v68, v75
	v_fma_f16 v29, v65, s8, v29
	v_fma_f16 v40, v68, s6, v40
	;; [unrolled: 1-line block ×3, first 2 shown]
	v_add_f16_e32 v68, v38, v57
	v_fma_f16 v26, v26, s6, v28
	v_add_f16_e32 v28, v6, v38
	v_fma_f16 v6, v68, -0.5, v6
	v_add_f16_e32 v28, v28, v55
	v_fma_f16 v68, v65, s7, v6
	v_fma_f16 v6, v65, s4, v6
	v_add_f16_e32 v65, v36, v37
	v_add_f16_e32 v28, v28, v56
	v_sub_f16_e32 v75, v55, v38
	v_sub_f16_e32 v76, v56, v57
	v_fma_f16 v65, v65, -0.5, v82
	v_sub_f16_e32 v38, v38, v57
	v_add_f16_e32 v28, v28, v57
	v_fma_f16 v68, v39, s5, v68
	v_add_f16_e32 v75, v75, v76
	v_fma_f16 v6, v39, s8, v6
	v_fma_f16 v57, v38, s7, v65
	v_sub_f16_e32 v55, v55, v56
	v_fma_f16 v68, v75, s6, v68
	v_fma_f16 v6, v75, s6, v6
	;; [unrolled: 1-line block ×3, first 2 shown]
	v_sub_f16_e32 v57, v42, v36
	v_sub_f16_e32 v75, v35, v37
	v_fma_f16 v65, v38, s4, v65
	v_add_f16_e32 v39, v82, v42
	v_add_f16_e32 v57, v57, v75
	v_fma_f16 v65, v55, s5, v65
	v_add_f16_e32 v39, v39, v36
	v_fma_f16 v56, v57, s6, v56
	v_fma_f16 v57, v57, s6, v65
	v_add_f16_e32 v65, v42, v35
	v_add_f16_e32 v39, v39, v37
	v_fma_f16 v65, v65, -0.5, v82
	v_add_f16_e32 v39, v39, v35
	v_fma_f16 v75, v55, s4, v65
	v_sub_f16_e32 v36, v36, v42
	v_sub_f16_e32 v35, v37, v35
	v_fma_f16 v37, v55, s7, v65
	v_fma_f16 v75, v38, s8, v75
	v_add_f16_e32 v35, v36, v35
	v_fma_f16 v37, v38, s5, v37
	v_fma_f16 v36, v35, s6, v75
	;; [unrolled: 1-line block ×3, first 2 shown]
	v_mov_b32_e32 v37, 1
	v_lshlrev_b32_sdwa v8, v37, v8 dst_sel:DWORD dst_unused:UNUSED_PAD src0_sel:DWORD src1_sel:BYTE_0
	v_add3_u32 v5, 0, v5, v8
	v_mul_u32_u24_e32 v8, 0x6e, v30
	v_lshlrev_b32_sdwa v30, v37, v31 dst_sel:DWORD dst_unused:UNUSED_PAD src0_sel:DWORD src1_sel:BYTE_0
	v_add_f16_e32 v58, v58, v81
	v_add3_u32 v8, 0, v8, v30
	ds_write_b16 v5, v58
	ds_write_b16 v5, v69 offset:22
	ds_write_b16 v5, v71 offset:44
	;; [unrolled: 1-line block ×4, first 2 shown]
	ds_write_b16 v8, v14
	ds_write_b16 v8, v52 offset:22
	ds_write_b16 v8, v72 offset:44
	ds_write_b16 v8, v33 offset:66
	ds_write_b16 v8, v17 offset:88
	v_mul_u32_u24_e32 v14, 0x6e, v59
	v_lshlrev_b32_sdwa v17, v37, v60 dst_sel:DWORD dst_unused:UNUSED_PAD src0_sel:DWORD src1_sel:BYTE_0
	v_add3_u32 v17, 0, v14, v17
	ds_write_b16 v17, v20
	ds_write_b16 v17, v49 offset:22
	ds_write_b16 v17, v66 offset:44
	;; [unrolled: 1-line block ×4, first 2 shown]
	v_mul_u32_u24_e32 v14, 0x6e, v61
	v_lshlrev_b32_sdwa v20, v37, v62 dst_sel:DWORD dst_unused:UNUSED_PAD src0_sel:DWORD src1_sel:BYTE_0
	v_add3_u32 v20, 0, v14, v20
	ds_write_b16 v20, v24
	ds_write_b16 v20, v45 offset:22
	ds_write_b16 v20, v67 offset:44
	ds_write_b16 v20, v7 offset:66
	ds_write_b16 v20, v25 offset:88
	v_mul_u32_u24_e32 v7, 0x6e, v73
	v_lshlrev_b32_e32 v14, 1, v74
	v_add3_u32 v7, 0, v7, v14
	ds_write_b16 v7, v28
	ds_write_b16 v7, v40 offset:22
	ds_write_b16 v7, v68 offset:44
	ds_write_b16 v7, v6 offset:66
	ds_write_b16 v7, v29 offset:88
	s_waitcnt lgkmcnt(0)
	; wave barrier
	s_waitcnt lgkmcnt(0)
	ds_read_u16 v31, v0 offset:660
	ds_read_u16 v32, v0 offset:770
	ds_read_u16 v33, v0
	ds_read_u16 v34, v0 offset:110
	ds_read_u16 v37, v0 offset:220
	;; [unrolled: 1-line block ×22, first 2 shown]
	s_waitcnt lgkmcnt(0)
	; wave barrier
	s_waitcnt lgkmcnt(0)
	ds_write_b16 v5, v64
	ds_write_b16 v5, v54 offset:22
	ds_write_b16 v5, v15 offset:44
	ds_write_b16 v5, v16 offset:66
	ds_write_b16 v5, v70 offset:88
	ds_write_b16 v8, v51
	ds_write_b16 v8, v50 offset:22
	ds_write_b16 v8, v19 offset:44
	ds_write_b16 v8, v18 offset:66
	ds_write_b16 v8, v53 offset:88
	;; [unrolled: 5-line block ×5, first 2 shown]
	v_lshlrev_b32_e32 v5, 2, v11
	v_mov_b32_e32 v6, 0
	v_lshlrev_b64 v[7:8], 2, v[5:6]
	v_mov_b32_e32 v5, s13
	v_add_co_u32_e64 v7, s[0:1], s12, v7
	v_addc_co_u32_e64 v8, s[0:1], v5, v8, s[0:1]
	s_waitcnt lgkmcnt(0)
	; wave barrier
	s_waitcnt lgkmcnt(0)
	global_load_dwordx4 v[15:18], v[7:8], off offset:176
	s_movk_i32 s0, 0x95
	v_mul_lo_u16_sdwa v5, v9, s0 dst_sel:DWORD dst_unused:UNUSED_PAD src0_sel:BYTE_0 src1_sel:DWORD
	v_lshrrev_b16_e32 v5, 13, v5
	v_mul_lo_u16_e32 v5, 55, v5
	v_sub_u16_e32 v5, v9, v5
	v_and_b32_e32 v5, 0xff, v5
	v_lshlrev_b32_e32 v19, 4, v5
	global_load_dwordx4 v[19:22], v19, s[12:13] offset:176
	v_mul_lo_u16_sdwa v23, v12, s0 dst_sel:DWORD dst_unused:UNUSED_PAD src0_sel:BYTE_0 src1_sel:DWORD
	v_lshrrev_b16_e32 v23, 13, v23
	v_mul_lo_u16_e32 v23, 55, v23
	s_movk_i32 s0, 0x29e5
	v_sub_u16_e32 v23, v12, v23
	v_mul_u32_u24_sdwa v27, v13, s0 dst_sel:DWORD dst_unused:UNUSED_PAD src0_sel:WORD_0 src1_sel:DWORD
	v_and_b32_e32 v39, 0xff, v23
	v_sub_u16_sdwa v28, v13, v27 dst_sel:DWORD dst_unused:UNUSED_PAD src0_sel:DWORD src1_sel:WORD_1
	v_lshlrev_b32_e32 v23, 4, v39
	v_lshrrev_b16_e32 v28, 1, v28
	ds_read_u16 v35, v0 offset:660
	ds_read_u16 v36, v0 offset:770
	global_load_dwordx4 v[23:26], v23, s[12:13] offset:176
	v_add_u16_sdwa v27, v28, v27 dst_sel:DWORD dst_unused:UNUSED_PAD src0_sel:DWORD src1_sel:WORD_1
	v_lshrrev_b16_e32 v27, 5, v27
	v_mul_lo_u16_e32 v27, 55, v27
	v_sub_u16_e32 v53, v13, v27
	v_lshlrev_b32_e32 v27, 4, v53
	ds_read_u16 v41, v0
	ds_read_u16 v43, v0 offset:110
	ds_read_u16 v44, v0 offset:220
	;; [unrolled: 1-line block ×7, first 2 shown]
	global_load_dwordx4 v[27:30], v27, s[12:13] offset:176
	ds_read_u16 v54, v0 offset:1760
	ds_read_u16 v56, v0 offset:1870
	;; [unrolled: 1-line block ×15, first 2 shown]
	s_waitcnt lgkmcnt(0)
	; wave barrier
	s_waitcnt lgkmcnt(0)
	v_lshl_add_u32 v5, v5, 1, 0
	v_lshl_add_u32 v53, v53, 1, 0
	s_waitcnt vmcnt(3)
	v_mul_f16_sdwa v82, v73, v15 dst_sel:DWORD dst_unused:UNUSED_PAD src0_sel:DWORD src1_sel:WORD_1
	v_fma_f16 v82, v62, v15, -v82
	v_mul_f16_sdwa v62, v62, v15 dst_sel:DWORD dst_unused:UNUSED_PAD src0_sel:DWORD src1_sel:WORD_1
	v_fma_f16 v62, v73, v15, v62
	v_mul_f16_sdwa v73, v77, v16 dst_sel:DWORD dst_unused:UNUSED_PAD src0_sel:DWORD src1_sel:WORD_1
	v_fma_f16 v73, v66, v16, -v73
	v_mul_f16_sdwa v66, v66, v16 dst_sel:DWORD dst_unused:UNUSED_PAD src0_sel:DWORD src1_sel:WORD_1
	v_fma_f16 v66, v77, v16, v66
	;; [unrolled: 4-line block ×5, first 2 shown]
	v_mul_f16_sdwa v31, v48, v16 dst_sel:DWORD dst_unused:UNUSED_PAD src0_sel:DWORD src1_sel:WORD_1
	v_mul_f16_sdwa v35, v42, v16 dst_sel:DWORD dst_unused:UNUSED_PAD src0_sel:DWORD src1_sel:WORD_1
	v_fma_f16 v31, v42, v16, -v31
	v_fma_f16 v16, v48, v16, v35
	v_mul_f16_sdwa v35, v54, v17 dst_sel:DWORD dst_unused:UNUSED_PAD src0_sel:DWORD src1_sel:WORD_1
	v_mul_f16_sdwa v42, v52, v17 dst_sel:DWORD dst_unused:UNUSED_PAD src0_sel:DWORD src1_sel:WORD_1
	v_fma_f16 v35, v52, v17, -v35
	v_fma_f16 v17, v54, v17, v42
	;; [unrolled: 4-line block ×3, first 2 shown]
	s_waitcnt vmcnt(2)
	v_mul_f16_sdwa v48, v36, v19 dst_sel:DWORD dst_unused:UNUSED_PAD src0_sel:DWORD src1_sel:WORD_1
	v_fma_f16 v48, v32, v19, -v48
	v_mul_f16_sdwa v32, v32, v19 dst_sel:DWORD dst_unused:UNUSED_PAD src0_sel:DWORD src1_sel:WORD_1
	v_fma_f16 v19, v36, v19, v32
	v_mul_f16_sdwa v32, v50, v20 dst_sel:DWORD dst_unused:UNUSED_PAD src0_sel:DWORD src1_sel:WORD_1
	v_mul_f16_sdwa v36, v45, v20 dst_sel:DWORD dst_unused:UNUSED_PAD src0_sel:DWORD src1_sel:WORD_1
	v_fma_f16 v32, v45, v20, -v32
	v_fma_f16 v20, v50, v20, v36
	v_mul_f16_sdwa v36, v56, v21 dst_sel:DWORD dst_unused:UNUSED_PAD src0_sel:DWORD src1_sel:WORD_1
	v_mul_f16_sdwa v45, v55, v21 dst_sel:DWORD dst_unused:UNUSED_PAD src0_sel:DWORD src1_sel:WORD_1
	v_fma_f16 v36, v55, v21, -v36
	;; [unrolled: 4-line block ×3, first 2 shown]
	v_fma_f16 v22, v70, v22, v50
	s_waitcnt vmcnt(1)
	v_mul_f16_sdwa v50, v47, v23 dst_sel:DWORD dst_unused:UNUSED_PAD src0_sel:DWORD src1_sel:WORD_1
	v_fma_f16 v50, v40, v23, -v50
	v_mul_f16_sdwa v40, v40, v23 dst_sel:DWORD dst_unused:UNUSED_PAD src0_sel:DWORD src1_sel:WORD_1
	v_fma_f16 v23, v47, v23, v40
	v_mul_f16_sdwa v40, v51, v24 dst_sel:DWORD dst_unused:UNUSED_PAD src0_sel:DWORD src1_sel:WORD_1
	v_mul_f16_sdwa v47, v49, v24 dst_sel:DWORD dst_unused:UNUSED_PAD src0_sel:DWORD src1_sel:WORD_1
	v_fma_f16 v40, v49, v24, -v40
	v_fma_f16 v24, v51, v24, v47
	v_mul_f16_sdwa v47, v57, v25 dst_sel:DWORD dst_unused:UNUSED_PAD src0_sel:DWORD src1_sel:WORD_1
	v_mul_f16_sdwa v49, v58, v25 dst_sel:DWORD dst_unused:UNUSED_PAD src0_sel:DWORD src1_sel:WORD_1
	v_fma_f16 v47, v58, v25, -v47
	v_fma_f16 v25, v57, v25, v49
	v_mul_f16_sdwa v49, v72, v26 dst_sel:DWORD dst_unused:UNUSED_PAD src0_sel:DWORD src1_sel:WORD_1
	v_mul_f16_sdwa v51, v61, v26 dst_sel:DWORD dst_unused:UNUSED_PAD src0_sel:DWORD src1_sel:WORD_1
	v_add_f16_e32 v57, v73, v77
	v_fma_f16 v49, v61, v26, -v49
	v_fma_f16 v26, v72, v26, v51
	s_waitcnt vmcnt(0)
	v_mul_f16_sdwa v51, v78, v27 dst_sel:DWORD dst_unused:UNUSED_PAD src0_sel:DWORD src1_sel:WORD_1
	v_mul_f16_sdwa v52, v67, v27 dst_sel:DWORD dst_unused:UNUSED_PAD src0_sel:DWORD src1_sel:WORD_1
	v_fma_f16 v57, v57, -0.5, v33
	v_sub_f16_e32 v58, v62, v68
	v_fma_f16 v51, v67, v27, -v51
	v_fma_f16 v27, v78, v27, v52
	v_mul_f16_sdwa v52, v76, v28 dst_sel:DWORD dst_unused:UNUSED_PAD src0_sel:DWORD src1_sel:WORD_1
	v_mul_f16_sdwa v54, v65, v28 dst_sel:DWORD dst_unused:UNUSED_PAD src0_sel:DWORD src1_sel:WORD_1
	v_fma_f16 v59, v58, s4, v57
	v_sub_f16_e32 v60, v66, v63
	v_sub_f16_e32 v61, v82, v73
	;; [unrolled: 1-line block ×3, first 2 shown]
	v_fma_f16 v57, v58, s7, v57
	v_fma_f16 v52, v65, v28, -v52
	v_fma_f16 v28, v76, v28, v54
	v_mul_f16_sdwa v54, v80, v29 dst_sel:DWORD dst_unused:UNUSED_PAD src0_sel:DWORD src1_sel:WORD_1
	v_mul_f16_sdwa v55, v69, v29 dst_sel:DWORD dst_unused:UNUSED_PAD src0_sel:DWORD src1_sel:WORD_1
	v_fma_f16 v59, v60, s5, v59
	v_add_f16_e32 v61, v61, v64
	v_fma_f16 v57, v60, s8, v57
	v_fma_f16 v54, v69, v29, -v54
	v_fma_f16 v29, v80, v29, v55
	v_mul_f16_sdwa v55, v81, v30 dst_sel:DWORD dst_unused:UNUSED_PAD src0_sel:DWORD src1_sel:WORD_1
	v_mul_f16_sdwa v56, v71, v30 dst_sel:DWORD dst_unused:UNUSED_PAD src0_sel:DWORD src1_sel:WORD_1
	v_fma_f16 v59, v61, s6, v59
	v_fma_f16 v57, v61, s6, v57
	v_add_f16_e32 v61, v82, v75
	v_fma_f16 v55, v71, v30, -v55
	v_fma_f16 v30, v81, v30, v56
	v_add_f16_e32 v56, v33, v82
	v_fma_f16 v33, v61, -0.5, v33
	v_fma_f16 v61, v60, s7, v33
	v_sub_f16_e32 v64, v73, v82
	v_sub_f16_e32 v65, v77, v75
	v_fma_f16 v33, v60, s4, v33
	v_fma_f16 v61, v58, s5, v61
	v_add_f16_e32 v64, v64, v65
	v_fma_f16 v33, v58, s8, v33
	v_add_f16_e32 v60, v66, v63
	v_fma_f16 v61, v64, s6, v61
	v_fma_f16 v33, v64, s6, v33
	v_fma_f16 v60, v60, -0.5, v41
	v_sub_f16_e32 v64, v82, v75
	v_fma_f16 v65, v64, s7, v60
	v_sub_f16_e32 v67, v73, v77
	v_sub_f16_e32 v69, v62, v66
	;; [unrolled: 1-line block ×3, first 2 shown]
	v_fma_f16 v60, v64, s4, v60
	v_fma_f16 v65, v67, s8, v65
	v_add_f16_e32 v69, v69, v70
	v_fma_f16 v60, v67, s5, v60
	v_fma_f16 v65, v69, s6, v65
	;; [unrolled: 1-line block ×3, first 2 shown]
	v_add_f16_e32 v69, v62, v68
	v_add_f16_e32 v58, v41, v62
	v_fma_f16 v41, v69, -0.5, v41
	v_add_f16_e32 v58, v58, v66
	v_fma_f16 v69, v67, s4, v41
	v_fma_f16 v41, v67, s7, v41
	v_add_f16_e32 v58, v58, v63
	v_fma_f16 v69, v64, s8, v69
	v_sub_f16_e32 v62, v66, v62
	v_sub_f16_e32 v63, v63, v68
	v_fma_f16 v41, v64, s5, v41
	v_add_f16_e32 v64, v31, v35
	v_add_f16_e32 v62, v62, v63
	v_fma_f16 v64, v64, -0.5, v34
	v_sub_f16_e32 v66, v15, v18
	v_add_f16_e32 v58, v58, v68
	v_fma_f16 v63, v62, s6, v69
	v_fma_f16 v67, v66, s4, v64
	v_sub_f16_e32 v68, v16, v17
	v_sub_f16_e32 v69, v79, v31
	;; [unrolled: 1-line block ×3, first 2 shown]
	v_fma_f16 v64, v66, s7, v64
	v_fma_f16 v67, v68, s5, v67
	v_add_f16_e32 v69, v69, v70
	v_fma_f16 v64, v68, s8, v64
	v_fma_f16 v41, v62, s6, v41
	v_add_f16_e32 v62, v34, v79
	;; [unrolled: 3-line block ×3, first 2 shown]
	v_add_f16_e32 v62, v62, v31
	v_fma_f16 v34, v69, -0.5, v34
	v_add_f16_e32 v62, v62, v35
	v_fma_f16 v69, v68, s7, v34
	v_sub_f16_e32 v70, v31, v79
	v_sub_f16_e32 v71, v35, v42
	v_fma_f16 v34, v68, s4, v34
	v_add_f16_e32 v68, v16, v17
	v_add_f16_e32 v62, v62, v42
	v_fma_f16 v69, v66, s5, v69
	v_add_f16_e32 v70, v70, v71
	v_fma_f16 v34, v66, s8, v34
	v_fma_f16 v68, v68, -0.5, v43
	v_sub_f16_e32 v42, v79, v42
	v_fma_f16 v69, v70, s6, v69
	v_fma_f16 v34, v70, s6, v34
	;; [unrolled: 1-line block ×3, first 2 shown]
	v_sub_f16_e32 v31, v31, v35
	v_fma_f16 v35, v31, s8, v70
	v_sub_f16_e32 v70, v15, v16
	v_sub_f16_e32 v71, v18, v17
	v_add_f16_e32 v70, v70, v71
	v_fma_f16 v71, v70, s6, v35
	v_fma_f16 v35, v42, s4, v68
	;; [unrolled: 1-line block ×3, first 2 shown]
	v_add_f16_e32 v66, v43, v15
	v_fma_f16 v68, v70, s6, v35
	v_add_f16_e32 v35, v15, v18
	v_add_f16_e32 v66, v66, v16
	v_fma_f16 v35, v35, -0.5, v43
	v_sub_f16_e32 v15, v16, v15
	v_sub_f16_e32 v16, v17, v18
	v_add_f16_e32 v15, v15, v16
	v_fma_f16 v16, v31, s7, v35
	v_fma_f16 v43, v31, s4, v35
	;; [unrolled: 1-line block ×5, first 2 shown]
	v_add_f16_e32 v16, v32, v36
	v_add_f16_e32 v66, v66, v17
	v_fma_f16 v16, v16, -0.5, v37
	v_sub_f16_e32 v17, v19, v22
	v_add_f16_e32 v66, v66, v18
	v_fma_f16 v18, v17, s4, v16
	v_sub_f16_e32 v31, v20, v21
	v_sub_f16_e32 v35, v48, v32
	;; [unrolled: 1-line block ×3, first 2 shown]
	v_fma_f16 v16, v17, s7, v16
	v_fma_f16 v18, v31, s5, v18
	v_add_f16_e32 v35, v35, v70
	v_fma_f16 v16, v31, s8, v16
	v_fma_f16 v18, v35, s6, v18
	;; [unrolled: 1-line block ×3, first 2 shown]
	v_add_f16_e32 v35, v48, v45
	v_fma_f16 v35, v35, -0.5, v37
	v_fma_f16 v43, v15, s6, v43
	v_add_f16_e32 v15, v37, v48
	v_fma_f16 v37, v31, s7, v35
	v_fma_f16 v31, v31, s4, v35
	v_fma_f16 v37, v17, s5, v37
	v_fma_f16 v17, v17, s8, v31
	v_add_f16_e32 v31, v44, v19
	v_sub_f16_e32 v70, v32, v48
	v_sub_f16_e32 v72, v36, v45
	v_add_f16_e32 v31, v31, v20
	v_add_f16_e32 v70, v70, v72
	;; [unrolled: 1-line block ×4, first 2 shown]
	v_fma_f16 v37, v70, s6, v37
	v_fma_f16 v17, v70, s6, v17
	v_add_f16_e32 v70, v31, v22
	v_add_f16_e32 v31, v20, v21
	;; [unrolled: 1-line block ×3, first 2 shown]
	v_fma_f16 v31, v31, -0.5, v44
	v_sub_f16_e32 v35, v48, v45
	v_add_f16_e32 v15, v15, v45
	v_fma_f16 v45, v35, s7, v31
	v_sub_f16_e32 v32, v32, v36
	v_fma_f16 v36, v32, s8, v45
	v_sub_f16_e32 v45, v19, v20
	v_sub_f16_e32 v48, v22, v21
	v_fma_f16 v31, v35, s4, v31
	v_add_f16_e32 v45, v45, v48
	v_fma_f16 v31, v32, s5, v31
	v_fma_f16 v48, v45, s6, v36
	;; [unrolled: 1-line block ×3, first 2 shown]
	v_add_f16_e32 v31, v19, v22
	v_fma_f16 v31, v31, -0.5, v44
	v_sub_f16_e32 v19, v20, v19
	v_sub_f16_e32 v20, v21, v22
	v_add_f16_e32 v19, v19, v20
	v_fma_f16 v20, v32, s7, v31
	v_fma_f16 v20, v35, s5, v20
	;; [unrolled: 1-line block ×3, first 2 shown]
	v_add_f16_e32 v20, v40, v47
	v_fma_f16 v36, v32, s4, v31
	v_fma_f16 v20, v20, -0.5, v38
	v_sub_f16_e32 v21, v23, v26
	v_fma_f16 v36, v35, s8, v36
	v_fma_f16 v22, v21, s4, v20
	v_sub_f16_e32 v31, v24, v25
	v_sub_f16_e32 v32, v50, v40
	;; [unrolled: 1-line block ×3, first 2 shown]
	v_fma_f16 v20, v21, s7, v20
	v_fma_f16 v22, v31, s5, v22
	v_add_f16_e32 v32, v32, v35
	v_fma_f16 v20, v31, s8, v20
	v_fma_f16 v22, v32, s6, v22
	;; [unrolled: 1-line block ×3, first 2 shown]
	v_add_f16_e32 v32, v50, v49
	v_fma_f16 v32, v32, -0.5, v38
	v_fma_f16 v35, v31, s7, v32
	v_fma_f16 v31, v31, s4, v32
	v_fma_f16 v35, v21, s5, v35
	v_fma_f16 v21, v21, s8, v31
	v_add_f16_e32 v31, v46, v23
	v_add_f16_e32 v31, v31, v24
	;; [unrolled: 1-line block ×4, first 2 shown]
	v_fma_f16 v44, v19, s6, v36
	v_add_f16_e32 v19, v38, v50
	v_sub_f16_e32 v36, v40, v50
	v_sub_f16_e32 v38, v47, v49
	v_add_f16_e32 v73, v31, v26
	v_add_f16_e32 v31, v24, v25
	;; [unrolled: 1-line block ×4, first 2 shown]
	v_fma_f16 v31, v31, -0.5, v46
	v_sub_f16_e32 v32, v50, v49
	v_add_f16_e32 v19, v19, v47
	v_fma_f16 v35, v36, s6, v35
	v_fma_f16 v21, v36, s6, v21
	v_fma_f16 v36, v32, s7, v31
	v_sub_f16_e32 v38, v40, v47
	v_sub_f16_e32 v40, v23, v24
	;; [unrolled: 1-line block ×3, first 2 shown]
	v_fma_f16 v31, v32, s4, v31
	v_fma_f16 v36, v38, s8, v36
	v_add_f16_e32 v40, v40, v47
	v_fma_f16 v31, v38, s5, v31
	v_fma_f16 v47, v40, s6, v36
	;; [unrolled: 1-line block ×3, first 2 shown]
	v_add_f16_e32 v31, v23, v26
	v_fma_f16 v31, v31, -0.5, v46
	v_sub_f16_e32 v23, v24, v23
	v_sub_f16_e32 v24, v25, v26
	v_add_f16_e32 v23, v23, v24
	v_fma_f16 v24, v38, s7, v31
	v_fma_f16 v24, v32, s5, v24
	v_add_f16_e32 v19, v19, v49
	v_fma_f16 v36, v38, s4, v31
	v_fma_f16 v49, v23, s6, v24
	v_add_f16_e32 v24, v52, v54
	v_fma_f16 v36, v32, s8, v36
	v_fma_f16 v24, v24, -0.5, v14
	v_sub_f16_e32 v25, v27, v30
	v_fma_f16 v46, v23, s6, v36
	v_fma_f16 v26, v25, s4, v24
	v_sub_f16_e32 v31, v28, v29
	v_sub_f16_e32 v32, v51, v52
	;; [unrolled: 1-line block ×3, first 2 shown]
	v_fma_f16 v24, v25, s7, v24
	v_fma_f16 v26, v31, s5, v26
	v_add_f16_e32 v32, v32, v36
	v_fma_f16 v24, v31, s8, v24
	v_fma_f16 v26, v32, s6, v26
	;; [unrolled: 1-line block ×3, first 2 shown]
	v_add_f16_e32 v32, v51, v55
	v_add_f16_e32 v23, v14, v51
	v_fma_f16 v14, v32, -0.5, v14
	v_fma_f16 v32, v31, s7, v14
	v_fma_f16 v14, v31, s4, v14
	;; [unrolled: 1-line block ×4, first 2 shown]
	v_add_f16_e32 v25, v74, v27
	v_add_f16_e32 v25, v25, v28
	;; [unrolled: 1-line block ×3, first 2 shown]
	v_sub_f16_e32 v36, v52, v51
	v_sub_f16_e32 v38, v54, v55
	v_add_f16_e32 v50, v25, v30
	v_add_f16_e32 v25, v28, v29
	;; [unrolled: 1-line block ×3, first 2 shown]
	v_fma_f16 v25, v25, -0.5, v74
	v_sub_f16_e32 v31, v51, v55
	v_add_f16_e32 v23, v23, v52
	v_fma_f16 v32, v36, s6, v32
	v_fma_f16 v14, v36, s6, v14
	v_fma_f16 v36, v31, s7, v25
	v_sub_f16_e32 v38, v52, v54
	v_sub_f16_e32 v51, v27, v28
	;; [unrolled: 1-line block ×3, first 2 shown]
	v_fma_f16 v25, v31, s4, v25
	v_fma_f16 v36, v38, s8, v36
	v_add_f16_e32 v51, v51, v52
	v_fma_f16 v25, v38, s5, v25
	v_fma_f16 v52, v51, s6, v36
	;; [unrolled: 1-line block ×3, first 2 shown]
	v_add_f16_e32 v25, v27, v30
	v_add_f16_e32 v56, v56, v77
	v_fma_f16 v25, v25, -0.5, v74
	v_add_f16_e32 v56, v56, v75
	v_add_f16_e32 v23, v23, v54
	v_fma_f16 v36, v38, s4, v25
	v_sub_f16_e32 v27, v28, v27
	v_sub_f16_e32 v28, v29, v30
	v_fma_f16 v25, v38, s7, v25
	v_add_f16_e32 v23, v23, v55
	v_fma_f16 v36, v31, s8, v36
	v_add_f16_e32 v27, v27, v28
	v_fma_f16 v25, v31, s5, v25
	ds_write_b16 v0, v56
	ds_write_b16 v0, v59 offset:110
	ds_write_b16 v0, v61 offset:220
	;; [unrolled: 1-line block ×9, first 2 shown]
	v_lshl_add_u32 v34, v39, 1, 0
	v_fma_f16 v54, v27, s6, v36
	v_fma_f16 v55, v27, s6, v25
	ds_write_b16 v5, v15 offset:1100
	ds_write_b16 v5, v18 offset:1210
	;; [unrolled: 1-line block ×15, first 2 shown]
	s_waitcnt lgkmcnt(0)
	; wave barrier
	s_waitcnt lgkmcnt(0)
	ds_read_u16 v20, v0 offset:660
	ds_read_u16 v25, v0 offset:770
	ds_read_u16 v14, v0
	ds_read_u16 v18, v0 offset:110
	ds_read_u16 v24, v0 offset:220
	ds_read_u16 v31, v0 offset:330
	ds_read_u16 v38, v0 offset:880
	ds_read_u16 v21, v0 offset:1210
	ds_read_u16 v27, v0 offset:1320
	ds_read_u16 v36, v0 offset:1430
	ds_read_u16 v22, v0 offset:1760
	ds_read_u16 v28, v0 offset:1870
	ds_read_u16 v37, v0 offset:1980
	ds_read_u16 v23, v0 offset:2310
	ds_read_u16 v26, v0 offset:2420
	ds_read_u16 v39, v0 offset:2530
	ds_read_u16 v15, v0 offset:550
	ds_read_u16 v35, v0 offset:440
	ds_read_u16 v16, v0 offset:1650
	ds_read_u16 v30, v0 offset:1540
	ds_read_u16 v19, v0 offset:1100
	ds_read_u16 v29, v0 offset:990
	ds_read_u16 v17, v0 offset:2200
	ds_read_u16 v33, v0 offset:2090
	ds_read_u16 v32, v0 offset:2640
	s_waitcnt lgkmcnt(0)
	; wave barrier
	s_waitcnt lgkmcnt(0)
	ds_write_b16 v0, v58
	ds_write_b16 v0, v65 offset:110
	ds_write_b16 v0, v63 offset:220
	;; [unrolled: 1-line block ×24, first 2 shown]
	s_waitcnt lgkmcnt(0)
	; wave barrier
	s_waitcnt lgkmcnt(0)
	s_and_saveexec_b64 s[0:1], vcc
	s_cbranch_execz .LBB0_21
; %bb.20:
	v_lshlrev_b32_e32 v5, 2, v13
	v_lshlrev_b64 v[41:42], 2, v[5:6]
	v_mov_b32_e32 v40, s13
	v_add_co_u32_e32 v41, vcc, s12, v41
	v_addc_co_u32_e32 v42, vcc, v40, v42, vcc
	global_load_dwordx4 v[41:44], v[41:42], off offset:1056
	v_mul_lo_u32 v34, s3, v3
	v_mul_lo_u32 v45, s2, v4
	v_mad_u64_u32 v[3:4], s[0:1], s2, v3, 0
	v_lshlrev_b32_e32 v5, 2, v12
	v_lshlrev_b64 v[12:13], 2, v[5:6]
	ds_read_u16 v53, v0 offset:2640
	ds_read_u16 v54, v0 offset:1650
	;; [unrolled: 1-line block ×20, first 2 shown]
	v_add_co_u32_e32 v12, vcc, s12, v12
	v_add3_u32 v4, v4, v45, v34
	v_addc_co_u32_e32 v13, vcc, v40, v13, vcc
	global_load_dwordx4 v[45:48], v[7:8], off offset:1056
	global_load_dwordx4 v[49:52], v[12:13], off offset:1056
	s_mov_b32 s0, 0xdca01dcb
	v_lshlrev_b64 v[3:4], 2, v[3:4]
	s_movk_i32 s1, 0x1000
	s_waitcnt vmcnt(2)
	v_mul_f16_sdwa v5, v29, v41 dst_sel:DWORD dst_unused:UNUSED_PAD src0_sel:DWORD src1_sel:WORD_1
	v_mul_f16_sdwa v7, v30, v42 dst_sel:DWORD dst_unused:UNUSED_PAD src0_sel:DWORD src1_sel:WORD_1
	;; [unrolled: 1-line block ×4, first 2 shown]
	s_waitcnt lgkmcnt(14)
	v_mul_f16_sdwa v13, v55, v42 dst_sel:DWORD dst_unused:UNUSED_PAD src0_sel:DWORD src1_sel:WORD_1
	s_waitcnt lgkmcnt(6)
	v_mul_f16_sdwa v34, v66, v43 dst_sel:DWORD dst_unused:UNUSED_PAD src0_sel:DWORD src1_sel:WORD_1
	v_mul_f16_sdwa v73, v60, v41 dst_sel:DWORD dst_unused:UNUSED_PAD src0_sel:DWORD src1_sel:WORD_1
	;; [unrolled: 1-line block ×3, first 2 shown]
	v_fma_f16 v5, v60, v41, v5
	v_fma_f16 v55, v55, v42, v7
	;; [unrolled: 1-line block ×4, first 2 shown]
	v_fma_f16 v42, v30, v42, -v13
	v_fma_f16 v43, v33, v43, -v34
	v_add_f16_e32 v30, v42, v43
	v_add_f16_e32 v75, v5, v53
	v_fma_f16 v41, v29, v41, -v73
	v_fma_f16 v44, v32, v44, -v74
	v_sub_f16_e32 v32, v42, v43
	v_add_f16_e32 v12, v55, v60
	v_fma_f16 v82, v30, -0.5, v35
	s_waitcnt lgkmcnt(1)
	v_fma_f16 v30, v75, -0.5, v71
	v_sub_f16_e32 v33, v41, v44
	v_sub_f16_e32 v13, v41, v42
	;; [unrolled: 1-line block ×5, first 2 shown]
	v_add_f16_e32 v78, v41, v44
	v_fma_f16 v80, v12, -0.5, v71
	v_fma_f16 v12, v32, s7, v30
	v_fma_f16 v30, v32, s4, v30
	v_sub_f16_e32 v7, v5, v55
	v_sub_f16_e32 v66, v5, v53
	;; [unrolled: 1-line block ×3, first 2 shown]
	v_add_f16_e32 v81, v13, v29
	v_add_f16_e32 v29, v34, v74
	v_fma_f16 v74, v78, -0.5, v35
	v_fma_f16 v12, v33, s5, v12
	v_fma_f16 v30, v33, s8, v30
	v_add_f16_e32 v5, v5, v71
	v_sub_f16_e32 v76, v42, v41
	v_sub_f16_e32 v77, v43, v44
	v_fma_f16 v13, v73, s4, v74
	v_fma_f16 v12, v29, s6, v12
	;; [unrolled: 1-line block ×4, first 2 shown]
	v_add_f16_e32 v5, v55, v5
	v_add_f16_e32 v34, v76, v77
	v_fma_f16 v13, v66, s8, v13
	v_fma_f16 v30, v66, s5, v30
	v_add_f16_e32 v5, v60, v5
	v_sub_f16_e32 v8, v53, v60
	v_fma_f16 v13, v34, s6, v13
	v_fma_f16 v30, v34, s6, v30
	v_add_f16_e32 v34, v53, v5
	v_fma_f16 v5, v66, s4, v82
	v_add_f16_e32 v79, v7, v8
	v_fma_f16 v7, v33, s4, v80
	v_fma_f16 v33, v33, s7, v80
	;; [unrolled: 1-line block ×6, first 2 shown]
	v_add_f16_e32 v5, v35, v41
	v_add_f16_e32 v5, v5, v42
	;; [unrolled: 1-line block ×4, first 2 shown]
	v_lshlrev_b32_e32 v5, 2, v9
	v_lshlrev_b64 v[41:42], 2, v[5:6]
	s_waitcnt vmcnt(0)
	v_mul_f16_sdwa v5, v38, v49 dst_sel:DWORD dst_unused:UNUSED_PAD src0_sel:DWORD src1_sel:WORD_1
	v_mul_f16_sdwa v9, v36, v50 dst_sel:DWORD dst_unused:UNUSED_PAD src0_sel:DWORD src1_sel:WORD_1
	;; [unrolled: 1-line block ×4, first 2 shown]
	v_fma_f16 v5, v61, v49, v5
	v_fma_f16 v9, v56, v50, v9
	;; [unrolled: 1-line block ×4, first 2 shown]
	v_mul_f16_sdwa v56, v56, v50 dst_sel:DWORD dst_unused:UNUSED_PAD src0_sel:DWORD src1_sel:WORD_1
	v_sub_f16_e32 v53, v5, v9
	v_sub_f16_e32 v71, v55, v60
	v_mul_f16_sdwa v61, v61, v49 dst_sel:DWORD dst_unused:UNUSED_PAD src0_sel:DWORD src1_sel:WORD_1
	v_fma_f16 v36, v36, v50, -v56
	v_mul_f16_sdwa v50, v67, v51 dst_sel:DWORD dst_unused:UNUSED_PAD src0_sel:DWORD src1_sel:WORD_1
	s_waitcnt lgkmcnt(0)
	v_add_f16_e32 v74, v5, v72
	v_add_f16_e32 v53, v53, v71
	;; [unrolled: 1-line block ×3, first 2 shown]
	v_fma_f16 v38, v38, v49, -v61
	v_mul_f16_sdwa v49, v62, v52 dst_sel:DWORD dst_unused:UNUSED_PAD src0_sel:DWORD src1_sel:WORD_1
	v_fma_f16 v37, v37, v51, -v50
	v_sub_f16_e32 v61, v5, v55
	v_sub_f16_e32 v67, v9, v60
	v_add_f16_e32 v74, v9, v74
	v_sub_f16_e32 v9, v9, v5
	v_add_f16_e32 v5, v5, v55
	v_fma_f16 v39, v39, v52, -v49
	v_sub_f16_e32 v50, v36, v37
	v_add_f16_e32 v74, v60, v74
	v_fma_f16 v5, v5, -0.5, v72
	v_sub_f16_e32 v49, v38, v39
	v_add_f16_e32 v74, v55, v74
	v_sub_f16_e32 v60, v60, v55
	v_fma_f16 v55, v50, s7, v5
	v_fma_f16 v5, v50, s4, v5
	v_add_co_u32_e32 v41, vcc, s12, v41
	v_fma_f16 v71, v71, -0.5, v72
	v_add_f16_e32 v9, v9, v60
	v_fma_f16 v5, v49, s8, v5
	v_addc_co_u32_e32 v42, vcc, v40, v42, vcc
	v_fma_f16 v60, v9, s6, v5
	v_fma_f16 v5, v49, s4, v71
	global_load_dwordx4 v[41:44], v[41:42], off offset:1056
	v_fma_f16 v55, v49, s5, v55
	v_fma_f16 v5, v50, s5, v5
	;; [unrolled: 1-line block ×5, first 2 shown]
	v_sub_f16_e32 v5, v36, v38
	v_sub_f16_e32 v9, v37, v39
	v_fma_f16 v51, v50, s8, v52
	v_add_f16_e32 v50, v5, v9
	v_add_f16_e32 v5, v38, v39
	v_fma_f16 v5, v5, -0.5, v31
	v_sub_f16_e32 v52, v38, v36
	v_sub_f16_e32 v56, v39, v37
	v_fma_f16 v9, v67, s4, v5
	v_fma_f16 v51, v53, s6, v51
	v_add_f16_e32 v52, v52, v56
	v_add_f16_e32 v56, v36, v37
	v_fma_f16 v9, v61, s8, v9
	v_fma_f16 v53, v67, s7, v5
	v_lshlrev_b32_e32 v5, 2, v10
	v_fma_f16 v56, v56, -0.5, v31
	v_add_f16_e32 v75, v31, v38
	v_fma_f16 v31, v50, s6, v9
	v_lshlrev_b64 v[9:10], 2, v[5:6]
	v_add_f16_e32 v75, v75, v36
	v_add_co_u32_e32 v9, vcc, s12, v9
	v_add_f16_e32 v75, v75, v37
	v_addc_co_u32_e32 v10, vcc, v40, v10, vcc
	v_add_f16_e32 v75, v39, v75
	global_load_dwordx4 v[36:39], v[9:10], off offset:1056
	v_fma_f16 v8, v66, s7, v82
	ds_read_u16 v66, v0 offset:1870
	v_fma_f16 v5, v61, s5, v53
	v_fma_f16 v8, v73, s8, v8
	ds_read_u16 v73, v0 offset:220
	v_fma_f16 v62, v61, s4, v56
	v_fma_f16 v9, v50, s6, v5
	;; [unrolled: 1-line block ×3, first 2 shown]
	ds_read_u16 v56, v0 offset:1760
	v_fma_f16 v62, v67, s5, v62
	v_fma_f16 v5, v67, s8, v5
	;; [unrolled: 1-line block ×4, first 2 shown]
	v_add_co_u32_e32 v3, vcc, s10, v3
	v_fma_f16 v7, v79, s6, v7
	v_fma_f16 v32, v79, s6, v32
	;; [unrolled: 1-line block ×3, first 2 shown]
	s_waitcnt vmcnt(1)
	v_mul_f16_sdwa v40, v27, v42 dst_sel:DWORD dst_unused:UNUSED_PAD src0_sel:DWORD src1_sel:WORD_1
	v_fma_f16 v40, v57, v42, v40
	v_mul_f16_sdwa v57, v57, v42 dst_sel:DWORD dst_unused:UNUSED_PAD src0_sel:DWORD src1_sel:WORD_1
	v_mul_f16_sdwa v5, v25, v41 dst_sel:DWORD dst_unused:UNUSED_PAD src0_sel:DWORD src1_sel:WORD_1
	v_mul_f16_sdwa v52, v26, v44 dst_sel:DWORD dst_unused:UNUSED_PAD src0_sel:DWORD src1_sel:WORD_1
	v_mul_f16_sdwa v53, v28, v43 dst_sel:DWORD dst_unused:UNUSED_PAD src0_sel:DWORD src1_sel:WORD_1
	v_fma_f16 v27, v27, v42, -v57
	s_waitcnt lgkmcnt(2)
	v_mul_f16_sdwa v42, v66, v43 dst_sel:DWORD dst_unused:UNUSED_PAD src0_sel:DWORD src1_sel:WORD_1
	v_fma_f16 v5, v68, v41, v5
	v_fma_f16 v52, v63, v44, v52
	;; [unrolled: 1-line block ×3, first 2 shown]
	v_fma_f16 v28, v28, v43, -v42
	v_mul_f16_sdwa v43, v68, v41 dst_sel:DWORD dst_unused:UNUSED_PAD src0_sel:DWORD src1_sel:WORD_1
	v_fma_f16 v25, v25, v41, -v43
	v_mul_f16_sdwa v41, v63, v44 dst_sel:DWORD dst_unused:UNUSED_PAD src0_sel:DWORD src1_sel:WORD_1
	v_sub_f16_e32 v71, v40, v5
	v_sub_f16_e32 v72, v53, v52
	;; [unrolled: 1-line block ×3, first 2 shown]
	v_fma_f16 v26, v26, v44, -v41
	ds_read_u16 v44, v0 offset:110
	v_sub_f16_e32 v66, v5, v52
	v_add_f16_e32 v71, v71, v72
	v_add_f16_e32 v72, v5, v52
	s_waitcnt lgkmcnt(2)
	v_add_f16_e32 v5, v5, v73
	v_add_f16_e32 v5, v40, v5
	;; [unrolled: 1-line block ×3, first 2 shown]
	v_sub_f16_e32 v61, v52, v53
	v_sub_f16_e32 v42, v27, v28
	v_add_f16_e32 v43, v40, v53
	v_sub_f16_e32 v68, v40, v53
	v_fma_f16 v72, v72, -0.5, v73
	v_add_f16_e32 v40, v52, v5
	v_add_f16_e32 v5, v24, v25
	v_add_f16_e32 v50, v50, v61
	v_sub_f16_e32 v41, v25, v26
	v_fma_f16 v43, v43, -0.5, v73
	v_sub_f16_e32 v61, v25, v27
	v_sub_f16_e32 v63, v26, v28
	v_fma_f16 v76, v42, s7, v72
	v_sub_f16_e32 v77, v27, v25
	v_sub_f16_e32 v78, v28, v26
	v_fma_f16 v72, v42, s4, v72
	v_add_f16_e32 v5, v5, v27
	v_fma_f16 v57, v41, s4, v43
	v_add_f16_e32 v61, v61, v63
	v_add_f16_e32 v63, v27, v28
	v_fma_f16 v76, v41, s5, v76
	v_add_f16_e32 v77, v77, v78
	v_add_f16_e32 v78, v25, v26
	v_fma_f16 v72, v41, s8, v72
	v_fma_f16 v41, v41, s7, v43
	v_add_f16_e32 v5, v5, v28
	s_waitcnt vmcnt(0)
	v_mul_f16_sdwa v43, v69, v36 dst_sel:DWORD dst_unused:UNUSED_PAD src0_sel:DWORD src1_sel:WORD_1
	v_fma_f16 v63, v63, -0.5, v24
	v_fma_f16 v78, v78, -0.5, v24
	v_add_f16_e32 v24, v26, v5
	v_mul_f16_sdwa v26, v21, v37 dst_sel:DWORD dst_unused:UNUSED_PAD src0_sel:DWORD src1_sel:WORD_1
	v_mul_f16_sdwa v27, v20, v36 dst_sel:DWORD dst_unused:UNUSED_PAD src0_sel:DWORD src1_sel:WORD_1
	v_fma_f16 v20, v20, v36, -v43
	v_mul_f16_sdwa v43, v58, v37 dst_sel:DWORD dst_unused:UNUSED_PAD src0_sel:DWORD src1_sel:WORD_1
	v_mul_f16_sdwa v5, v23, v39 dst_sel:DWORD dst_unused:UNUSED_PAD src0_sel:DWORD src1_sel:WORD_1
	v_fma_f16 v26, v58, v37, v26
	v_fma_f16 v21, v21, v37, -v43
	s_waitcnt lgkmcnt(1)
	v_mul_f16_sdwa v37, v56, v38 dst_sel:DWORD dst_unused:UNUSED_PAD src0_sel:DWORD src1_sel:WORD_1
	v_fma_f16 v5, v64, v39, v5
	v_mul_f16_sdwa v25, v22, v38 dst_sel:DWORD dst_unused:UNUSED_PAD src0_sel:DWORD src1_sel:WORD_1
	v_fma_f16 v27, v69, v36, v27
	v_fma_f16 v22, v22, v38, -v37
	v_mul_f16_sdwa v37, v64, v39 dst_sel:DWORD dst_unused:UNUSED_PAD src0_sel:DWORD src1_sel:WORD_1
	v_fma_f16 v25, v56, v38, v25
	v_fma_f16 v23, v23, v39, -v37
	v_add_f16_e32 v39, v5, v27
	v_fma_f16 v57, v42, s5, v57
	v_fma_f16 v41, v42, s8, v41
	v_sub_f16_e32 v37, v26, v27
	v_sub_f16_e32 v38, v25, v5
	s_waitcnt lgkmcnt(0)
	v_fma_f16 v39, v39, -0.5, v44
	v_sub_f16_e32 v43, v21, v22
	v_fma_f16 v57, v50, s6, v57
	v_fma_f16 v41, v50, s6, v41
	v_add_f16_e32 v37, v38, v37
	v_sub_f16_e32 v38, v20, v23
	v_fma_f16 v50, v43, s7, v39
	v_fma_f16 v39, v43, s4, v39
	;; [unrolled: 1-line block ×6, first 2 shown]
	v_sub_f16_e32 v39, v27, v26
	v_sub_f16_e32 v52, v5, v25
	v_add_f16_e32 v39, v52, v39
	v_add_f16_e32 v52, v25, v26
	;; [unrolled: 1-line block ×3, first 2 shown]
	v_fma_f16 v44, v52, -0.5, v44
	v_fma_f16 v52, v38, s4, v44
	v_fma_f16 v38, v38, s7, v44
	;; [unrolled: 1-line block ×6, first 2 shown]
	v_sub_f16_e32 v39, v21, v20
	v_sub_f16_e32 v43, v22, v23
	v_add_f16_e32 v28, v26, v28
	v_add_f16_e32 v36, v18, v20
	;; [unrolled: 1-line block ×6, first 2 shown]
	v_fma_f16 v43, v43, -0.5, v18
	v_sub_f16_e32 v25, v26, v25
	v_sub_f16_e32 v20, v20, v21
	v_add_f16_e32 v21, v22, v21
	v_add_f16_e32 v28, v5, v28
	;; [unrolled: 1-line block ×3, first 2 shown]
	v_fma_f16 v26, v25, s4, v43
	v_sub_f16_e32 v5, v27, v5
	v_fma_f16 v27, v25, s7, v43
	v_fma_f16 v18, v21, -0.5, v18
	v_add_f16_e32 v36, v23, v36
	v_fma_f16 v26, v5, s8, v26
	v_fma_f16 v27, v5, s5, v27
	v_sub_f16_e32 v23, v23, v22
	v_fma_f16 v21, v5, s7, v18
	v_fma_f16 v5, v5, s4, v18
	v_add_f16_e32 v20, v23, v20
	v_fma_f16 v21, v25, s8, v21
	v_fma_f16 v5, v25, s5, v5
	ds_read_u16 v0, v0
	v_fma_f16 v21, v20, s6, v21
	v_fma_f16 v18, v20, s6, v5
	v_mul_f16_sdwa v5, v15, v45 dst_sel:DWORD dst_unused:UNUSED_PAD src0_sel:DWORD src1_sel:WORD_1
	v_mul_f16_sdwa v20, v19, v46 dst_sel:DWORD dst_unused:UNUSED_PAD src0_sel:DWORD src1_sel:WORD_1
	;; [unrolled: 1-line block ×4, first 2 shown]
	v_fma_f16 v5, v70, v45, v5
	v_fma_f16 v20, v59, v46, v20
	;; [unrolled: 1-line block ×6, first 2 shown]
	v_sub_f16_e32 v22, v5, v20
	v_sub_f16_e32 v39, v23, v25
	v_add_f16_e32 v22, v22, v39
	v_mul_f16_sdwa v39, v59, v46 dst_sel:DWORD dst_unused:UNUSED_PAD src0_sel:DWORD src1_sel:WORD_1
	v_mul_f16_sdwa v43, v70, v45 dst_sel:DWORD dst_unused:UNUSED_PAD src0_sel:DWORD src1_sel:WORD_1
	v_sub_f16_e32 v56, v20, v5
	v_sub_f16_e32 v58, v25, v23
	v_fma_f16 v67, v66, s7, v63
	v_fma_f16 v42, v66, s4, v63
	v_fma_f16 v19, v19, v46, -v39
	v_mul_f16_sdwa v39, v54, v47 dst_sel:DWORD dst_unused:UNUSED_PAD src0_sel:DWORD src1_sel:WORD_1
	v_fma_f16 v15, v15, v45, -v43
	v_mul_f16_sdwa v43, v65, v48 dst_sel:DWORD dst_unused:UNUSED_PAD src0_sel:DWORD src1_sel:WORD_1
	v_add_f16_e32 v44, v20, v25
	v_add_f16_e32 v56, v56, v58
	v_add_f16_e32 v58, v5, v23
	v_fma_f16 v67, v68, s8, v67
	v_fma_f16 v42, v68, s5, v42
	v_fma_f16 v16, v16, v47, -v39
	v_fma_f16 v17, v17, v48, -v43
	s_waitcnt lgkmcnt(0)
	v_fma_f16 v44, v44, -0.5, v0
	v_fma_f16 v58, v58, -0.5, v0
	v_add_f16_e32 v0, v5, v0
	v_fma_f16 v67, v61, s6, v67
	v_fma_f16 v42, v61, s6, v42
	v_sub_f16_e32 v46, v15, v19
	v_sub_f16_e32 v47, v17, v16
	;; [unrolled: 1-line block ×4, first 2 shown]
	v_add_f16_e32 v0, v20, v0
	v_add_f16_e32 v46, v46, v47
	;; [unrolled: 1-line block ×6, first 2 shown]
	v_fma_f16 v47, v47, -0.5, v14
	v_sub_f16_e32 v48, v5, v23
	v_fma_f16 v63, v63, -0.5, v14
	v_add_f16_e32 v5, v23, v0
	v_add_f16_e32 v0, v14, v15
	v_mul_hi_u32 v14, v11, s0
	v_add_f16_e32 v0, v0, v19
	v_add_f16_e32 v0, v0, v16
	v_sub_f16_e32 v43, v15, v17
	v_add_f16_e32 v15, v17, v0
	v_sub_u32_e32 v0, v11, v14
	v_lshrrev_b32_e32 v0, 1, v0
	v_add_u32_e32 v0, v0, v14
	v_lshrrev_b32_e32 v0, 8, v0
	v_mul_u32_u24_e32 v0, 0x113, v0
	v_sub_f16_e32 v39, v19, v16
	v_sub_u32_e32 v14, v11, v0
	v_mov_b32_e32 v0, s11
	v_fma_f16 v59, v39, s7, v58
	v_fma_f16 v58, v39, s4, v58
	v_addc_co_u32_e32 v4, vcc, v0, v4, vcc
	v_lshlrev_b64 v[0:1], 2, v[1:2]
	v_fma_f16 v45, v43, s4, v44
	v_fma_f16 v59, v43, s5, v59
	;; [unrolled: 1-line block ×6, first 2 shown]
	v_add_co_u32_e32 v2, vcc, v3, v0
	v_fma_f16 v45, v22, s6, v45
	v_sub_f16_e32 v54, v20, v25
	v_fma_f16 v22, v22, s6, v39
	v_fma_f16 v39, v48, s4, v47
	v_addc_co_u32_e32 v3, vcc, v4, v1, vcc
	v_lshlrev_b32_e32 v0, 2, v14
	v_fma_f16 v59, v56, s6, v59
	v_fma_f16 v56, v56, s6, v58
	v_fma_f16 v58, v54, s7, v63
	v_fma_f16 v39, v54, s5, v39
	v_add_co_u32_e32 v0, vcc, v2, v0
	v_fma_f16 v64, v54, s4, v63
	v_fma_f16 v58, v48, s5, v58
	;; [unrolled: 1-line block ×3, first 2 shown]
	v_addc_co_u32_e32 v1, vcc, 0, v3, vcc
	v_pack_b32_f16 v4, v15, v5
	v_fma_f16 v64, v48, s8, v64
	v_fma_f16 v58, v61, s6, v58
	global_store_dword v[0:1], v4, off
	v_pack_b32_f16 v4, v39, v22
	v_add_u32_e32 v5, 55, v11
	v_fma_f16 v53, v48, s7, v47
	v_fma_f16 v64, v61, s6, v64
	global_store_dword v[0:1], v4, off offset:1100
	v_pack_b32_f16 v4, v58, v56
	v_mul_hi_u32 v14, v5, s0
	v_fma_f16 v53, v54, s8, v53
	global_store_dword v[0:1], v4, off offset:2200
	v_pack_b32_f16 v4, v64, v59
	v_fma_f16 v53, v46, s6, v53
	global_store_dword v[0:1], v4, off offset:3300
	v_add_co_u32_e32 v0, vcc, s1, v0
	v_pack_b32_f16 v4, v53, v45
	v_addc_co_u32_e32 v1, vcc, 0, v1, vcc
	global_store_dword v[0:1], v4, off offset:304
	v_sub_u32_e32 v0, v5, v14
	v_lshrrev_b32_e32 v0, 1, v0
	v_add_u32_e32 v0, v0, v14
	v_lshrrev_b32_e32 v0, 8, v0
	v_mul_u32_u24_e32 v1, 0x113, v0
	v_sub_u32_e32 v1, v5, v1
	s_movk_i32 s1, 0x55f
	v_mad_u32_u24 v5, v0, s1, v1
	v_lshlrev_b64 v[0:1], 2, v[5:6]
	v_pack_b32_f16 v4, v36, v28
	v_add_co_u32_e32 v0, vcc, v2, v0
	v_addc_co_u32_e32 v1, vcc, v3, v1, vcc
	global_store_dword v[0:1], v4, off
	v_add_u32_e32 v0, 0x113, v5
	v_mov_b32_e32 v1, v6
	v_lshlrev_b64 v[0:1], 2, v[0:1]
	v_pack_b32_f16 v4, v18, v38
	v_add_co_u32_e32 v0, vcc, v2, v0
	v_addc_co_u32_e32 v1, vcc, v3, v1, vcc
	global_store_dword v[0:1], v4, off
	v_add_u32_e32 v0, 0x226, v5
	v_mov_b32_e32 v1, v6
	;; [unrolled: 7-line block ×3, first 2 shown]
	v_lshlrev_b64 v[0:1], 2, v[0:1]
	v_pack_b32_f16 v4, v26, v50
	v_add_co_u32_e32 v0, vcc, v2, v0
	v_addc_co_u32_e32 v1, vcc, v3, v1, vcc
	global_store_dword v[0:1], v4, off
	v_add_u32_e32 v5, 0x44c, v5
	v_add_u32_e32 v4, 0x6e, v11
	v_lshlrev_b64 v[0:1], 2, v[5:6]
	v_mul_hi_u32 v5, v4, s0
	v_add_co_u32_e32 v0, vcc, v2, v0
	v_addc_co_u32_e32 v1, vcc, v3, v1, vcc
	v_pack_b32_f16 v14, v21, v52
	global_store_dword v[0:1], v14, off
	v_sub_u32_e32 v0, v4, v5
	v_lshrrev_b32_e32 v0, 1, v0
	v_add_u32_e32 v0, v0, v5
	v_lshrrev_b32_e32 v0, 8, v0
	v_mul_u32_u24_e32 v1, 0x113, v0
	v_sub_u32_e32 v1, v4, v1
	v_mad_u32_u24 v5, v0, s1, v1
	v_lshlrev_b64 v[0:1], 2, v[5:6]
	v_pack_b32_f16 v4, v24, v40
	v_add_co_u32_e32 v0, vcc, v2, v0
	v_addc_co_u32_e32 v1, vcc, v3, v1, vcc
	global_store_dword v[0:1], v4, off
	v_add_u32_e32 v0, 0x113, v5
	v_mov_b32_e32 v1, v6
	v_lshlrev_b64 v[0:1], 2, v[0:1]
	v_pack_b32_f16 v4, v42, v41
	v_add_co_u32_e32 v0, vcc, v2, v0
	v_addc_co_u32_e32 v1, vcc, v3, v1, vcc
	global_store_dword v[0:1], v4, off
	v_add_u32_e32 v0, 0x226, v5
	v_mov_b32_e32 v1, v6
	v_fma_f16 v76, v71, s6, v76
	v_fma_f16 v71, v71, s6, v72
	;; [unrolled: 1-line block ×3, first 2 shown]
	v_lshlrev_b64 v[0:1], 2, v[0:1]
	v_fma_f16 v72, v66, s5, v72
	v_fma_f16 v72, v77, s6, v72
	v_add_co_u32_e32 v0, vcc, v2, v0
	v_addc_co_u32_e32 v1, vcc, v3, v1, vcc
	v_pack_b32_f16 v4, v72, v71
	global_store_dword v[0:1], v4, off
	v_add_u32_e32 v0, 0x339, v5
	v_mov_b32_e32 v1, v6
	v_fma_f16 v79, v68, s4, v78
	v_lshlrev_b64 v[0:1], 2, v[0:1]
	v_fma_f16 v79, v66, s8, v79
	v_fma_f16 v79, v77, s6, v79
	v_add_co_u32_e32 v0, vcc, v2, v0
	v_addc_co_u32_e32 v1, vcc, v3, v1, vcc
	v_pack_b32_f16 v4, v79, v76
	global_store_dword v[0:1], v4, off
	v_add_u32_e32 v5, 0x44c, v5
	v_add_u32_e32 v4, 0xa5, v11
	v_lshlrev_b64 v[0:1], 2, v[5:6]
	v_mul_hi_u32 v5, v4, s0
	v_add_co_u32_e32 v0, vcc, v2, v0
	v_addc_co_u32_e32 v1, vcc, v3, v1, vcc
	v_pack_b32_f16 v14, v67, v57
	global_store_dword v[0:1], v14, off
	v_sub_u32_e32 v0, v4, v5
	v_lshrrev_b32_e32 v0, 1, v0
	v_add_u32_e32 v0, v0, v5
	v_lshrrev_b32_e32 v0, 8, v0
	v_mul_u32_u24_e32 v1, 0x113, v0
	v_sub_u32_e32 v1, v4, v1
	v_mad_u32_u24 v5, v0, s1, v1
	v_lshlrev_b64 v[0:1], 2, v[5:6]
	v_pack_b32_f16 v4, v75, v74
	v_add_co_u32_e32 v0, vcc, v2, v0
	v_addc_co_u32_e32 v1, vcc, v3, v1, vcc
	global_store_dword v[0:1], v4, off
	v_add_u32_e32 v0, 0x113, v5
	v_mov_b32_e32 v1, v6
	v_lshlrev_b64 v[0:1], 2, v[0:1]
	v_pack_b32_f16 v4, v62, v51
	v_add_co_u32_e32 v0, vcc, v2, v0
	v_addc_co_u32_e32 v1, vcc, v3, v1, vcc
	global_store_dword v[0:1], v4, off
	v_add_u32_e32 v0, 0x226, v5
	v_mov_b32_e32 v1, v6
	;; [unrolled: 7-line block ×3, first 2 shown]
	v_lshlrev_b64 v[0:1], 2, v[0:1]
	v_pack_b32_f16 v4, v31, v55
	v_add_co_u32_e32 v0, vcc, v2, v0
	v_addc_co_u32_e32 v1, vcc, v3, v1, vcc
	global_store_dword v[0:1], v4, off
	v_add_u32_e32 v5, 0x44c, v5
	v_add_u32_e32 v4, 0xdc, v11
	v_lshlrev_b64 v[0:1], 2, v[5:6]
	v_mul_hi_u32 v5, v4, s0
	v_add_co_u32_e32 v0, vcc, v2, v0
	v_addc_co_u32_e32 v1, vcc, v3, v1, vcc
	v_pack_b32_f16 v9, v10, v49
	global_store_dword v[0:1], v9, off
	v_sub_u32_e32 v0, v4, v5
	v_lshrrev_b32_e32 v0, 1, v0
	v_add_u32_e32 v0, v0, v5
	v_lshrrev_b32_e32 v0, 8, v0
	v_mul_u32_u24_e32 v1, 0x113, v0
	v_sub_u32_e32 v1, v4, v1
	v_mad_u32_u24 v5, v0, s1, v1
	v_lshlrev_b64 v[0:1], 2, v[5:6]
	v_pack_b32_f16 v4, v35, v34
	v_add_co_u32_e32 v0, vcc, v2, v0
	v_addc_co_u32_e32 v1, vcc, v3, v1, vcc
	global_store_dword v[0:1], v4, off
	v_add_u32_e32 v0, 0x113, v5
	v_mov_b32_e32 v1, v6
	v_lshlrev_b64 v[0:1], 2, v[0:1]
	v_pack_b32_f16 v4, v33, v32
	v_add_co_u32_e32 v0, vcc, v2, v0
	v_addc_co_u32_e32 v1, vcc, v3, v1, vcc
	global_store_dword v[0:1], v4, off
	v_add_u32_e32 v0, 0x226, v5
	v_mov_b32_e32 v1, v6
	;; [unrolled: 7-line block ×3, first 2 shown]
	v_lshlrev_b64 v[0:1], 2, v[0:1]
	v_pack_b32_f16 v4, v13, v12
	v_add_co_u32_e32 v0, vcc, v2, v0
	v_addc_co_u32_e32 v1, vcc, v3, v1, vcc
	v_add_u32_e32 v5, 0x44c, v5
	global_store_dword v[0:1], v4, off
	v_lshlrev_b64 v[0:1], 2, v[5:6]
	v_add_co_u32_e32 v0, vcc, v2, v0
	v_addc_co_u32_e32 v1, vcc, v3, v1, vcc
	v_pack_b32_f16 v2, v8, v7
	global_store_dword v[0:1], v2, off
.LBB0_21:
	s_endpgm
	.section	.rodata,"a",@progbits
	.p2align	6, 0x0
	.amdhsa_kernel fft_rtc_fwd_len1375_factors_11_5_5_5_wgs_55_tpt_55_halfLds_half_op_CI_CI_unitstride_sbrr_dirReg
		.amdhsa_group_segment_fixed_size 0
		.amdhsa_private_segment_fixed_size 0
		.amdhsa_kernarg_size 104
		.amdhsa_user_sgpr_count 6
		.amdhsa_user_sgpr_private_segment_buffer 1
		.amdhsa_user_sgpr_dispatch_ptr 0
		.amdhsa_user_sgpr_queue_ptr 0
		.amdhsa_user_sgpr_kernarg_segment_ptr 1
		.amdhsa_user_sgpr_dispatch_id 0
		.amdhsa_user_sgpr_flat_scratch_init 0
		.amdhsa_user_sgpr_private_segment_size 0
		.amdhsa_uses_dynamic_stack 0
		.amdhsa_system_sgpr_private_segment_wavefront_offset 0
		.amdhsa_system_sgpr_workgroup_id_x 1
		.amdhsa_system_sgpr_workgroup_id_y 0
		.amdhsa_system_sgpr_workgroup_id_z 0
		.amdhsa_system_sgpr_workgroup_info 0
		.amdhsa_system_vgpr_workitem_id 0
		.amdhsa_next_free_vgpr 107
		.amdhsa_next_free_sgpr 47
		.amdhsa_reserve_vcc 1
		.amdhsa_reserve_flat_scratch 0
		.amdhsa_float_round_mode_32 0
		.amdhsa_float_round_mode_16_64 0
		.amdhsa_float_denorm_mode_32 3
		.amdhsa_float_denorm_mode_16_64 3
		.amdhsa_dx10_clamp 1
		.amdhsa_ieee_mode 1
		.amdhsa_fp16_overflow 0
		.amdhsa_exception_fp_ieee_invalid_op 0
		.amdhsa_exception_fp_denorm_src 0
		.amdhsa_exception_fp_ieee_div_zero 0
		.amdhsa_exception_fp_ieee_overflow 0
		.amdhsa_exception_fp_ieee_underflow 0
		.amdhsa_exception_fp_ieee_inexact 0
		.amdhsa_exception_int_div_zero 0
	.end_amdhsa_kernel
	.text
.Lfunc_end0:
	.size	fft_rtc_fwd_len1375_factors_11_5_5_5_wgs_55_tpt_55_halfLds_half_op_CI_CI_unitstride_sbrr_dirReg, .Lfunc_end0-fft_rtc_fwd_len1375_factors_11_5_5_5_wgs_55_tpt_55_halfLds_half_op_CI_CI_unitstride_sbrr_dirReg
                                        ; -- End function
	.section	.AMDGPU.csdata,"",@progbits
; Kernel info:
; codeLenInByte = 19036
; NumSgprs: 51
; NumVgprs: 107
; ScratchSize: 0
; MemoryBound: 0
; FloatMode: 240
; IeeeMode: 1
; LDSByteSize: 0 bytes/workgroup (compile time only)
; SGPRBlocks: 6
; VGPRBlocks: 26
; NumSGPRsForWavesPerEU: 51
; NumVGPRsForWavesPerEU: 107
; Occupancy: 2
; WaveLimiterHint : 1
; COMPUTE_PGM_RSRC2:SCRATCH_EN: 0
; COMPUTE_PGM_RSRC2:USER_SGPR: 6
; COMPUTE_PGM_RSRC2:TRAP_HANDLER: 0
; COMPUTE_PGM_RSRC2:TGID_X_EN: 1
; COMPUTE_PGM_RSRC2:TGID_Y_EN: 0
; COMPUTE_PGM_RSRC2:TGID_Z_EN: 0
; COMPUTE_PGM_RSRC2:TIDIG_COMP_CNT: 0
	.type	__hip_cuid_4339323fdb4ad9cc,@object ; @__hip_cuid_4339323fdb4ad9cc
	.section	.bss,"aw",@nobits
	.globl	__hip_cuid_4339323fdb4ad9cc
__hip_cuid_4339323fdb4ad9cc:
	.byte	0                               ; 0x0
	.size	__hip_cuid_4339323fdb4ad9cc, 1

	.ident	"AMD clang version 19.0.0git (https://github.com/RadeonOpenCompute/llvm-project roc-6.4.0 25133 c7fe45cf4b819c5991fe208aaa96edf142730f1d)"
	.section	".note.GNU-stack","",@progbits
	.addrsig
	.addrsig_sym __hip_cuid_4339323fdb4ad9cc
	.amdgpu_metadata
---
amdhsa.kernels:
  - .args:
      - .actual_access:  read_only
        .address_space:  global
        .offset:         0
        .size:           8
        .value_kind:     global_buffer
      - .offset:         8
        .size:           8
        .value_kind:     by_value
      - .actual_access:  read_only
        .address_space:  global
        .offset:         16
        .size:           8
        .value_kind:     global_buffer
      - .actual_access:  read_only
        .address_space:  global
        .offset:         24
        .size:           8
        .value_kind:     global_buffer
      - .actual_access:  read_only
        .address_space:  global
        .offset:         32
        .size:           8
        .value_kind:     global_buffer
      - .offset:         40
        .size:           8
        .value_kind:     by_value
      - .actual_access:  read_only
        .address_space:  global
        .offset:         48
        .size:           8
        .value_kind:     global_buffer
      - .actual_access:  read_only
        .address_space:  global
        .offset:         56
        .size:           8
        .value_kind:     global_buffer
      - .offset:         64
        .size:           4
        .value_kind:     by_value
      - .actual_access:  read_only
        .address_space:  global
        .offset:         72
        .size:           8
        .value_kind:     global_buffer
      - .actual_access:  read_only
        .address_space:  global
        .offset:         80
        .size:           8
        .value_kind:     global_buffer
      - .actual_access:  read_only
        .address_space:  global
        .offset:         88
        .size:           8
        .value_kind:     global_buffer
      - .actual_access:  write_only
        .address_space:  global
        .offset:         96
        .size:           8
        .value_kind:     global_buffer
    .group_segment_fixed_size: 0
    .kernarg_segment_align: 8
    .kernarg_segment_size: 104
    .language:       OpenCL C
    .language_version:
      - 2
      - 0
    .max_flat_workgroup_size: 55
    .name:           fft_rtc_fwd_len1375_factors_11_5_5_5_wgs_55_tpt_55_halfLds_half_op_CI_CI_unitstride_sbrr_dirReg
    .private_segment_fixed_size: 0
    .sgpr_count:     51
    .sgpr_spill_count: 0
    .symbol:         fft_rtc_fwd_len1375_factors_11_5_5_5_wgs_55_tpt_55_halfLds_half_op_CI_CI_unitstride_sbrr_dirReg.kd
    .uniform_work_group_size: 1
    .uses_dynamic_stack: false
    .vgpr_count:     107
    .vgpr_spill_count: 0
    .wavefront_size: 64
amdhsa.target:   amdgcn-amd-amdhsa--gfx906
amdhsa.version:
  - 1
  - 2
...

	.end_amdgpu_metadata
